;; amdgpu-corpus repo=triton-lang/triton kind=triton arch=gfx1100 opt=O3 lang=triton
	.amdgcn_target "amdgcn-amd-amdhsa--gfx1100"
	.amdhsa_code_object_version 5
	.text
	.globl	matmul_kernel                   ; -- Begin function matmul_kernel
	.p2align	8
	.type	matmul_kernel,@function
matmul_kernel:                          ; @matmul_kernel
.Lfunc_begin0:
	.file	1 "/root/src/amdgpu-assembly/repos/triton-lang__triton-aot" "matmul.py"
	.loc	1 7 0                           ; matmul.py:7:0
	.cfi_sections .debug_frame
	.cfi_startproc
; %bb.0:
	s_clause 0x1
	s_load_b128 s[36:39], s[0:1], 0x10
	s_load_b32 s16, s[0:1], 0x20
	v_dual_mov_b32 v97, v0 :: v_dual_mov_b32 v64, 0
.Ltmp0:
	.loc	1 16 22 prologue_end            ; matmul.py:16:22
	s_abs_i32 s5, s15
	v_dual_mov_b32 v65, 0 :: v_dual_mov_b32 v66, 0
	v_dual_mov_b32 v67, 0 :: v_dual_mov_b32 v68, 0
	;; [unrolled: 1-line block ×8, first 2 shown]
.Ltmp1:
	.file	2 "/root/.local/lib/python3.13/site-packages/triton/language" "standard.py"
	.loc	2 43 17                         ; standard.py:43:17 @[ matmul.py:14:27 ]
	s_waitcnt lgkmcnt(0)
	s_add_i32 s2, s39, 0x7f
.Ltmp2:
	.loc	2 43 17 is_stmt 0               ; standard.py:43:17 @[ matmul.py:13:27 ]
	s_add_i32 s6, s38, 0xff
.Ltmp3:
	.loc	2 43 30                         ; standard.py:43:30 @[ matmul.py:14:27 ]
	s_ashr_i32 s3, s2, 31
.Ltmp4:
	.loc	2 43 30                         ; standard.py:43:30 @[ matmul.py:13:27 ]
	s_ashr_i32 s8, s6, 31
.Ltmp5:
	.loc	2 43 30                         ; standard.py:43:30 @[ matmul.py:14:27 ]
	s_lshr_b32 s3, s3, 25
.Ltmp6:
	.loc	2 43 30                         ; standard.py:43:30 @[ matmul.py:13:27 ]
	s_lshr_b32 s8, s8, 24
.Ltmp7:
	.loc	2 43 30                         ; standard.py:43:30 @[ matmul.py:14:27 ]
	s_add_i32 s2, s2, s3
.Ltmp8:
	.loc	2 43 30                         ; standard.py:43:30 @[ matmul.py:13:27 ]
	s_add_i32 s6, s6, s8
.Ltmp9:
	.loc	2 43 30                         ; standard.py:43:30 @[ matmul.py:14:27 ]
	s_ashr_i32 s2, s2, 7
.Ltmp10:
	.loc	2 43 30                         ; standard.py:43:30 @[ matmul.py:13:27 ]
	s_ashr_i32 s6, s6, 8
.Ltmp11:
	.loc	1 15 38 is_stmt 1               ; matmul.py:15:38
	s_lshl_b32 s2, s2, 3
	v_dual_mov_b32 v81, 0 :: v_dual_mov_b32 v82, 0
	.loc	1 16 22                         ; matmul.py:16:22
	s_abs_i32 s3, s2
	v_dual_mov_b32 v83, 0 :: v_dual_mov_b32 v84, 0
	v_cvt_f32_u32_e32 v0, s3
	s_sub_i32 s7, 0, s3
	v_dual_mov_b32 v85, 0 :: v_dual_mov_b32 v86, 0
	v_dual_mov_b32 v87, 0 :: v_dual_mov_b32 v88, 0
	s_delay_alu instid0(VALU_DEP_3)
	v_rcp_iflag_f32_e32 v0, v0
	v_dual_mov_b32 v89, 0 :: v_dual_mov_b32 v90, 0
	v_dual_mov_b32 v91, 0 :: v_dual_mov_b32 v92, 0
	;; [unrolled: 1-line block ×3, first 2 shown]
	v_mov_b32_e32 v133, 0
	v_dual_mov_b32 v95, 0 :: v_dual_mov_b32 v96, 0
	s_waitcnt_depctr depctr_va_vdst(0)
	v_dual_mul_f32 v0, 0x4f7ffffe, v0 :: v_dual_mov_b32 v129, 0
	v_dual_mov_b32 v130, 0 :: v_dual_mov_b32 v131, 0
	v_mov_b32_e32 v132, 0
	s_delay_alu instid0(VALU_DEP_3) | instskip(SKIP_2) | instid1(VALU_DEP_3)
	v_cvt_u32_f32_e32 v0, v0
	v_dual_mov_b32 v134, 0 :: v_dual_mov_b32 v135, 0
	v_dual_mov_b32 v136, 0 :: v_dual_mov_b32 v137, 0
	v_readfirstlane_b32 s4, v0
	v_dual_mov_b32 v138, 0 :: v_dual_mov_b32 v139, 0
	v_dual_mov_b32 v140, 0 :: v_dual_mov_b32 v141, 0
	s_mul_i32 s7, s7, s4
	v_dual_mov_b32 v142, 0 :: v_dual_mov_b32 v143, 0
	s_mul_hi_u32 s7, s4, s7
	v_dual_mov_b32 v144, 0 :: v_dual_mov_b32 v145, 0
	s_add_i32 s4, s4, s7
	s_xor_b32 s7, s15, s2
	s_mul_hi_u32 s4, s5, s4
	s_ashr_i32 s7, s7, 31
	s_mul_i32 s8, s4, s3
	v_dual_mov_b32 v146, 0 :: v_dual_mov_b32 v147, 0
	s_sub_i32 s5, s5, s8
	s_add_i32 s8, s4, 1
	s_sub_i32 s9, s5, s3
	s_cmp_ge_u32 s5, s3
	v_dual_mov_b32 v148, 0 :: v_dual_mov_b32 v149, 0
	s_cselect_b32 s4, s8, s4
	s_cselect_b32 s5, s9, s5
	s_add_i32 s8, s4, 1
	s_cmp_ge_u32 s5, s3
	v_dual_mov_b32 v150, 0 :: v_dual_mov_b32 v151, 0
	s_cselect_b32 s3, s8, s4
	v_dual_mov_b32 v152, 0 :: v_dual_mov_b32 v153, 0
	s_xor_b32 s3, s3, s7
	v_dual_mov_b32 v154, 0 :: v_dual_mov_b32 v155, 0
	s_sub_i32 s3, s3, s7
	v_dual_mov_b32 v156, 0 :: v_dual_mov_b32 v157, 0
	.loc	1 17 29                         ; matmul.py:17:29
	s_lshl_b32 s4, s3, 3
	.loc	1 19 34                         ; matmul.py:19:34
	s_mul_i32 s3, s3, s2
	.loc	1 18 35                         ; matmul.py:18:35
	s_sub_i32 s5, s6, s4
	.loc	1 19 34                         ; matmul.py:19:34
	s_sub_i32 s2, s15, s3
	.loc	1 18 48                         ; matmul.py:18:48
	s_min_i32 s5, s5, 8
	v_dual_mov_b32 v158, 0 :: v_dual_mov_b32 v159, 0
	.loc	1 20 40                         ; matmul.py:20:40
	s_abs_i32 s6, s5
	v_dual_mov_b32 v160, 0 :: v_dual_mov_b32 v161, 0
	v_cvt_f32_u32_e32 v0, s6
	v_mov_b32_e32 v165, 0
	s_sub_i32 s8, 0, s6
	v_dual_mov_b32 v162, 0 :: v_dual_mov_b32 v163, 0
	s_delay_alu instid0(VALU_DEP_3)
	v_rcp_iflag_f32_e32 v0, v0
	v_dual_mov_b32 v164, 0 :: v_dual_mov_b32 v167, 0
	v_dual_mov_b32 v166, 0 :: v_dual_mov_b32 v169, 0
	;; [unrolled: 1-line block ×5, first 2 shown]
	s_waitcnt_depctr depctr_va_vdst(0)
	v_mul_f32_e32 v0, 0x4f7ffffe, v0
	v_dual_mov_b32 v174, 0 :: v_dual_and_b32 v99, 32, v97
	v_dual_mov_b32 v179, 0 :: v_dual_and_b32 v98, 15, v97
	s_delay_alu instid0(VALU_DEP_3) | instskip(SKIP_3) | instid1(VALU_DEP_4)
	v_cvt_u32_f32_e32 v0, v0
	v_dual_mov_b32 v176, 0 :: v_dual_mov_b32 v181, 0
	v_dual_mov_b32 v177, 0 :: v_dual_mov_b32 v178, 0
	v_mov_b32_e32 v183, 0
	v_readfirstlane_b32 s7, v0
	.loc	1 22 51                         ; matmul.py:22:51
	v_and_b32_e32 v0, 0xc0, v97
	v_dual_mov_b32 v180, 0 :: v_dual_mov_b32 v185, 0
	v_dual_mov_b32 v182, 0 :: v_dual_mov_b32 v187, 0
	.loc	1 20 40                         ; matmul.py:20:40
	s_mul_i32 s8, s8, s7
	s_delay_alu instid0(VALU_DEP_3)
	.loc	1 22 51                         ; matmul.py:22:51
	v_lshrrev_b32_e32 v100, 2, v0
	.loc	1 20 40                         ; matmul.py:20:40
	s_mul_hi_u32 s3, s7, s8
	s_abs_i32 s8, s2
	s_add_i32 s7, s7, s3
	v_dual_mov_b32 v184, 0 :: v_dual_mov_b32 v189, 0
	s_mul_hi_u32 s3, s8, s7
	s_xor_b32 s7, s2, s5
	s_mul_i32 s9, s3, s6
	s_ashr_i32 s7, s7, 31
	s_sub_i32 s8, s8, s9
	s_add_i32 s9, s3, 1
	s_sub_i32 s10, s8, s6
	s_cmp_ge_u32 s8, s6
	v_dual_mov_b32 v186, 0 :: v_dual_mov_b32 v191, 0
	s_cselect_b32 s3, s9, s3
	s_cselect_b32 s8, s10, s8
	s_add_i32 s9, s3, 1
	s_cmp_ge_u32 s8, s6
	v_dual_mov_b32 v188, 0 :: v_dual_mov_b32 v193, 0
	s_cselect_b32 s3, s9, s3
	v_dual_mov_b32 v190, 0 :: v_dual_mov_b32 v195, 0
	s_xor_b32 s3, s3, s7
	v_dual_mov_b32 v192, 0 :: v_dual_mov_b32 v197, 0
	s_sub_i32 s3, s3, s7
	v_dual_mov_b32 v194, 0 :: v_dual_mov_b32 v199, 0
	.loc	1 19 54                         ; matmul.py:19:54
	s_mul_i32 s5, s3, s5
	v_dual_mov_b32 v196, 0 :: v_dual_mov_b32 v201, 0
	s_sub_i32 s5, s2, s5
	v_dual_mov_b32 v198, 0 :: v_dual_mov_b32 v203, 0
	.loc	1 19 27 is_stmt 0               ; matmul.py:19:27
	s_add_i32 s5, s5, s4
	v_dual_mov_b32 v200, 0 :: v_dual_mov_b32 v205, 0
	v_dual_mov_b32 v202, 0 :: v_dual_mov_b32 v207, 0
	;; [unrolled: 1-line block ×9, first 2 shown]
	v_mov_b32_e32 v218, 0
	v_mov_b32_e32 v12, 0
	;; [unrolled: 1-line block ×4, first 2 shown]
.Ltmp12:
	.loc	2 43 17 is_stmt 1               ; standard.py:43:17 @[ matmul.py:29:33 ]
	s_add_i32 s2, s16, 31
.Ltmp13:
	.loc	1 23 23                         ; matmul.py:23:23
	s_lshl_b32 s14, s3, 7
	.loc	1 22 23                         ; matmul.py:22:23
	s_lshl_b32 s15, s5, 8
	.loc	1 29 22                         ; matmul.py:29:22
	s_cmp_lt_i32 s2, 32
	s_cbranch_scc1 .LBB0_100
; %bb.1:                                ; %.lr.ph
	.loc	1 23 68                         ; matmul.py:23:68
	s_abs_i32 s12, s39
	.loc	1 22 68                         ; matmul.py:22:68
	s_abs_i32 s3, s38
	.loc	1 23 68                         ; matmul.py:23:68
	v_cvt_f32_u32_e32 v1, s12
	.loc	1 22 68                         ; matmul.py:22:68
	v_cvt_f32_u32_e32 v2, s3
	.loc	1 22 51 is_stmt 0               ; matmul.py:22:51
	v_lshrrev_b32_e32 v4, 5, v97
	.loc	1 22 68                         ; matmul.py:22:68
	s_ashr_i32 s13, s15, 31
	.loc	1 23 68 is_stmt 1               ; matmul.py:23:68
	s_sub_i32 s19, 0, s12
	v_rcp_iflag_f32_e32 v1, v1
	.loc	1 22 68                         ; matmul.py:22:68
	v_rcp_iflag_f32_e32 v2, v2
	.loc	1 22 51 is_stmt 0               ; matmul.py:22:51
	v_or_b32_e32 v47, s15, v4
	.loc	1 25 60 is_stmt 1               ; matmul.py:25:60
	v_and_b32_e32 v19, 31, v97
	.loc	1 23 38                         ; matmul.py:23:38
	v_and_or_b32 v3, 0x7f, v97, s14
	.loc	1 23 68 is_stmt 0               ; matmul.py:23:68
	s_ashr_i32 s18, s14, 31
	s_clause 0x1
	s_load_b128 s[4:7], s[0:1], 0x0
	s_load_b128 s[8:11], s[0:1], 0x24
	.loc	1 26 29 is_stmt 1               ; matmul.py:26:29
	v_lshrrev_b32_e32 v20, 7, v97
	v_lshlrev_b32_e32 v81, 1, v97
	.loc	1 22 38                         ; matmul.py:22:38
	v_or_b32_e32 v34, 0x98, v47
	.loc	1 23 68                         ; matmul.py:23:68
	v_dual_mul_f32 v1, 0x4f7ffffe, v1 :: v_dual_add_nc_u32 v46, s13, v47
	.loc	1 22 68                         ; matmul.py:22:68
	v_mul_f32_e32 v2, 0x4f7ffffe, v2
	.loc	1 26 29                         ; matmul.py:26:29
	v_or_b32_e32 v22, 14, v20
	v_or_b32_e32 v23, 22, v20
	s_delay_alu instid0(VALU_DEP_4)
	.loc	1 23 68                         ; matmul.py:23:68
	v_cvt_u32_f32_e32 v1, v1
	.loc	1 26 29                         ; matmul.py:26:29
	v_or_b32_e32 v12, 30, v20
	.loc	1 22 68                         ; matmul.py:22:68
	v_cvt_u32_f32_e32 v2, v2
	.loc	1 26 29                         ; matmul.py:26:29
	v_or_b32_e32 v103, 16, v20
	scratch_store_b32 off, v22, off offset:64 ; 4-byte Folded Spill
	.loc	1 23 68                         ; matmul.py:23:68
	v_mul_lo_u32 v5, s19, v1
	.loc	1 22 68                         ; matmul.py:22:68
	s_sub_i32 s19, 0, s3
	scratch_store_b32 off, v12, off offset:96 ; 4-byte Folded Spill
	v_mul_lo_u32 v4, s19, v2
	.loc	1 26 29                         ; matmul.py:26:29
	v_or_b32_e32 v94, 2, v20
	s_clause 0x1                            ; 8-byte Folded Spill
	scratch_store_b32 off, v20, off offset:36
	scratch_store_b32 off, v19, off offset:32
	v_or_b32_e32 v95, 4, v20
	.loc	1 23 68                         ; matmul.py:23:68
	v_mul_hi_u32 v5, v1, v5
	.loc	1 26 29                         ; matmul.py:26:29
	v_or_b32_e32 v21, 6, v20
	v_or_b32_e32 v96, 8, v20
	.loc	1 22 68                         ; matmul.py:22:68
	v_mul_hi_u32 v4, v2, v4
	.loc	1 26 29                         ; matmul.py:26:29
	v_or_b32_e32 v101, 10, v20
	v_or_b32_e32 v102, 12, v20
	v_or_b32_e32 v104, 18, v20
	v_or_b32_e32 v86, 20, v20
	.loc	1 23 68                         ; matmul.py:23:68
	v_add_nc_u32_e32 v1, v1, v5
	.loc	1 22 38                         ; matmul.py:22:38
	v_or_b32_e32 v5, 0xf8, v47
	.loc	1 26 29                         ; matmul.py:26:29
	v_or_b32_e32 v84, 24, v20
	.loc	1 22 68                         ; matmul.py:22:68
	v_add_nc_u32_e32 v45, v2, v4
	.loc	1 26 29                         ; matmul.py:26:29
	v_or_b32_e32 v82, 26, v20
	v_or_b32_e32 v80, 28, v20
	.loc	1 22 68                         ; matmul.py:22:68
	v_add_nc_u32_e32 v5, s13, v5
	s_clause 0x6                            ; 28-byte Folded Spill
	scratch_store_b32 off, v23, off offset:80
	scratch_store_b32 off, v84, off offset:84
	;; [unrolled: 1-line block ×7, first 2 shown]
	v_xor_b32_e32 v5, s13, v5
	s_clause 0x5                            ; 24-byte Folded Spill
	scratch_store_b32 off, v21, off offset:48
	scratch_store_b32 off, v102, off offset:60
	;; [unrolled: 1-line block ×6, first 2 shown]
	v_mul_hi_u32 v6, v5, v45
	.loc	1 22 38 is_stmt 0               ; matmul.py:22:38
	v_or_b32_e32 v43, 0x78, v47
	v_lshlrev_b32_e32 v0, 4, v0
	v_or_b32_e32 v90, 0x600, v81
	v_or_b32_e32 v91, 0xe00, v81
	v_or_b32_e32 v92, 0x1600, v81
	v_or_b32_e32 v93, 0x1e00, v81
.Ltmp14:
	.loc	2 43 30 is_stmt 1               ; standard.py:43:30 @[ matmul.py:29:33 ]
	s_ashr_i32 s17, s2, 31
.Ltmp15:
	.loc	1 22 68                         ; matmul.py:22:68
	v_mul_lo_u32 v6, v6, s3
.Ltmp16:
	.loc	2 43 30                         ; standard.py:43:30 @[ matmul.py:29:33 ]
	s_lshr_b32 s17, s17, 27
.Ltmp17:
	.loc	1 22 68                         ; matmul.py:22:68
	v_add_nc_u32_e32 v26, 0xc0, v46
.Ltmp18:
	.loc	2 43 30                         ; standard.py:43:30 @[ matmul.py:29:33 ]
	s_add_i32 s2, s2, s17
.Ltmp19:
	.loc	1 22 68                         ; matmul.py:22:68
	v_add_nc_u32_e32 v34, s13, v34
.Ltmp20:
	.loc	2 43 30                         ; standard.py:43:30 @[ matmul.py:29:33 ]
	s_ashr_i32 s17, s2, 5
.Ltmp21:
	.loc	1 34 33                         ; matmul.py:34:33
	s_waitcnt lgkmcnt(0)
	s_lshl_b32 s2, s10, 5
	.loc	1 22 68                         ; matmul.py:22:68
	v_add_nc_u32_e32 v40, 0x88, v46
	v_sub_nc_u32_e32 v5, v5, v6
	v_add_nc_u32_e32 v57, 0x50, v46
	v_add_nc_u32_e32 v59, 0x48, v46
	;; [unrolled: 1-line block ×3, first 2 shown]
	v_mov_b32_e32 v105, 0
	v_subrev_nc_u32_e32 v6, s3, v5
	.loc	1 23 68                         ; matmul.py:23:68
	v_add_nc_u32_e32 v3, s18, v3
	v_mov_b32_e32 v113, 0
	v_mov_b32_e32 v121, 0
	s_delay_alu instid0(VALU_DEP_3) | instskip(NEXT) | instid1(VALU_DEP_1)
	v_xor_b32_e32 v3, s18, v3
	v_mul_hi_u32 v1, v3, v1
	s_delay_alu instid0(VALU_DEP_1) | instskip(NEXT) | instid1(VALU_DEP_1)
	v_mul_lo_u32 v1, v1, s12
	v_sub_nc_u32_e32 v1, v3, v1
	s_delay_alu instid0(VALU_DEP_1) | instskip(SKIP_1) | instid1(VALU_DEP_2)
	v_subrev_nc_u32_e32 v7, s12, v1
	v_cmp_le_u32_e32 vcc_lo, s12, v1
	v_dual_cndmask_b32 v1, v1, v7 :: v_dual_add_nc_u32 v2, 0xf0, v46
	s_delay_alu instid0(VALU_DEP_1) | instskip(SKIP_1) | instid1(VALU_DEP_3)
	.loc	1 22 68                         ; matmul.py:22:68
	v_xor_b32_e32 v2, s13, v2
	v_add_nc_u32_e32 v7, 0xe0, v46
	.loc	1 23 68                         ; matmul.py:23:68
	v_cmp_le_u32_e32 vcc_lo, s12, v1
	.loc	1 22 68                         ; matmul.py:22:68
	v_add_nc_u32_e32 v4, 0xe8, v46
	s_delay_alu instid0(VALU_DEP_4) | instskip(NEXT) | instid1(VALU_DEP_2)
	v_mul_hi_u32 v8, v2, v45
	v_xor_b32_e32 v3, s13, v4
	.loc	1 22 38 is_stmt 0               ; matmul.py:22:38
	v_or_b32_e32 v4, 0xd8, v47
	s_delay_alu instid0(VALU_DEP_2) | instskip(NEXT) | instid1(VALU_DEP_2)
	.loc	1 22 68                         ; matmul.py:22:68
	v_mul_hi_u32 v9, v3, v45
	v_add_nc_u32_e32 v10, s13, v4
	v_mul_lo_u32 v4, v8, s3
	.loc	1 23 68 is_stmt 1               ; matmul.py:23:68
	v_subrev_nc_u32_e32 v8, s12, v1
	.loc	1 33 33                         ; matmul.py:33:33
	s_lshl_b32 s12, s9, 5
	s_delay_alu instid0(VALU_DEP_1) | instskip(SKIP_1) | instid1(VALU_DEP_4)
	.loc	1 23 68                         ; matmul.py:23:68
	v_cndmask_b32_e32 v1, v1, v8, vcc_lo
	.loc	1 22 68                         ; matmul.py:22:68
	v_cmp_le_u32_e32 vcc_lo, s3, v5
	v_sub_nc_u32_e32 v2, v2, v4
	v_mul_lo_u32 v9, v9, s3
	v_xor_b32_e32 v8, s13, v7
	.loc	1 23 68                         ; matmul.py:23:68
	v_xor_b32_e32 v1, s18, v1
	.loc	1 22 68                         ; matmul.py:22:68
	v_cndmask_b32_e32 v4, v5, v6, vcc_lo
	v_subrev_nc_u32_e32 v5, s3, v2
	v_cmp_le_u32_e32 vcc_lo, s3, v2
	v_mul_hi_u32 v11, v8, v45
	.loc	1 23 68                         ; matmul.py:23:68
	v_subrev_nc_u32_e32 v1, s18, v1
	.loc	1 22 68                         ; matmul.py:22:68
	v_sub_nc_u32_e32 v3, v3, v9
	v_subrev_nc_u32_e32 v7, s3, v4
	v_cndmask_b32_e32 v9, v2, v5, vcc_lo
	v_cmp_le_u32_e32 vcc_lo, s3, v4
	.loc	1 26 71                         ; matmul.py:26:71
	v_mul_lo_u32 v5, v1, s11
	.loc	1 22 68                         ; matmul.py:22:68
	v_subrev_nc_u32_e32 v6, s3, v3
	v_mul_lo_u32 v11, v11, s3
	v_subrev_nc_u32_e32 v17, s3, v9
	v_cndmask_b32_e32 v1, v4, v7, vcc_lo
	v_cmp_le_u32_e32 vcc_lo, s3, v3
	.loc	1 26 52                         ; matmul.py:26:52
	v_mad_u64_u32 v[14:15], null, s10, v12, v[5:6]
	.loc	1 22 68                         ; matmul.py:22:68
	v_cndmask_b32_e32 v16, v3, v6, vcc_lo
	s_delay_alu instid0(VALU_DEP_4)
	v_xor_b32_e32 v18, s13, v1
	v_cmp_le_u32_e32 vcc_lo, s3, v9
	.loc	1 26 52                         ; matmul.py:26:52
	v_mad_u64_u32 v[12:13], null, s10, v23, v[5:6]
	v_mad_u64_u32 v[6:7], null, s10, v22, v[5:6]
	.loc	1 22 68                         ; matmul.py:22:68
	v_cndmask_b32_e32 v9, v9, v17, vcc_lo
	v_subrev_nc_u32_e32 v17, s13, v18
	v_subrev_nc_u32_e32 v18, s3, v16
	v_cmp_le_u32_e32 vcc_lo, s3, v16
	.loc	1 25 71                         ; matmul.py:25:71
	v_mul_lo_u32 v22, s9, v19
	.loc	1 22 68                         ; matmul.py:22:68
	v_xor_b32_e32 v19, s13, v10
	v_sub_nc_u32_e32 v11, v8, v11
	.loc	1 26 52                         ; matmul.py:26:52
	v_mad_u64_u32 v[1:2], null, s10, v20, v[5:6]
	.loc	1 22 68                         ; matmul.py:22:68
	v_cndmask_b32_e32 v16, v16, v18, vcc_lo
	v_add_nc_u32_e32 v18, 0xd0, v46
	v_mul_hi_u32 v20, v19, v45
	v_xor_b32_e32 v10, s13, v9
	.loc	1 25 53                         ; matmul.py:25:53
	v_mad_u64_u32 v[8:9], null, v17, s8, v[22:23]
	s_delay_alu instid0(VALU_DEP_4)
	.loc	1 22 68                         ; matmul.py:22:68
	v_xor_b32_e32 v18, s13, v18
	v_subrev_nc_u32_e32 v9, s3, v11
	v_cmp_le_u32_e32 vcc_lo, s3, v11
	.loc	1 26 52                         ; matmul.py:26:52
	v_mad_u64_u32 v[3:4], null, s10, v21, v[5:6]
	.loc	1 22 68                         ; matmul.py:22:68
	v_subrev_nc_u32_e32 v17, s13, v10
	v_mul_lo_u32 v20, v20, s3
	v_mul_hi_u32 v21, v18, v45
	v_cndmask_b32_e32 v23, v11, v9, vcc_lo
	v_xor_b32_e32 v16, s13, v16
	.loc	1 29 22                         ; matmul.py:29:22
	v_mad_u64_u32 v[78:79], null, s10, v80, v[5:6]
	.loc	1 26 22                         ; matmul.py:26:22
	v_ashrrev_i32_e32 v15, 31, v14
	s_delay_alu instid0(VALU_DEP_4) | instskip(NEXT) | instid1(VALU_DEP_4)
	.loc	1 25 53                         ; matmul.py:25:53
	v_mad_u64_u32 v[10:11], null, v17, s8, v[22:23]
	.loc	1 22 68                         ; matmul.py:22:68
	v_subrev_nc_u32_e32 v11, s13, v16
	v_subrev_nc_u32_e32 v16, s3, v23
	v_cmp_le_u32_e32 vcc_lo, s3, v23
	v_sub_nc_u32_e32 v19, v19, v20
	v_mul_lo_u32 v20, v21, s3
	v_add_nc_u32_e32 v21, 0xc8, v46
	.loc	1 29 22                         ; matmul.py:29:22
	v_lshlrev_b64 v[14:15], 1, v[14:15]
	.loc	1 22 68                         ; matmul.py:22:68
	v_cndmask_b32_e32 v23, v23, v16, vcc_lo
	v_cmp_le_u32_e32 vcc_lo, s3, v19
	scratch_store_b32 off, v81, off offset:100 ; 4-byte Folded Spill
	v_xor_b32_e32 v21, s13, v21
	.loc	1 26 22                         ; matmul.py:26:22
	v_ashrrev_i32_e32 v13, 31, v12
	.loc	1 25 53                         ; matmul.py:25:53
	v_mad_u64_u32 v[16:17], null, v11, s8, v[22:23]
	.loc	1 22 68                         ; matmul.py:22:68
	v_subrev_nc_u32_e32 v11, s3, v19
	v_sub_nc_u32_e32 v18, v18, v20
	v_mul_hi_u32 v20, v21, v45
	v_xor_b32_e32 v23, s13, v23
	.loc	1 29 22                         ; matmul.py:29:22
	v_ashrrev_i32_e32 v79, 31, v78
	.loc	1 22 68                         ; matmul.py:22:68
	v_cndmask_b32_e32 v19, v19, v11, vcc_lo
	v_subrev_nc_u32_e32 v24, s3, v18
	v_cmp_le_u32_e32 vcc_lo, s3, v18
	v_subrev_nc_u32_e32 v23, s13, v23
	.loc	1 29 22                         ; matmul.py:29:22
	v_lshlrev_b64 v[12:13], 1, v[12:13]
	.loc	1 22 68                         ; matmul.py:22:68
	v_subrev_nc_u32_e32 v25, s3, v19
	v_mul_lo_u32 v20, v20, s3
	v_cndmask_b32_e32 v24, v18, v24, vcc_lo
	v_cmp_le_u32_e32 vcc_lo, s3, v19
	.loc	1 29 22                         ; matmul.py:29:22
	s_clause 0x1                            ; 16-byte Folded Spill
	scratch_store_b64 off, v[14:15], off offset:104
	scratch_store_b64 off, v[12:13], off offset:136
	v_lshlrev_b64 v[14:15], 1, v[78:79]
	.loc	1 26 22                         ; matmul.py:26:22
	v_ashrrev_i32_e32 v4, 31, v3
	.loc	1 22 68                         ; matmul.py:22:68
	v_cndmask_b32_e32 v25, v19, v25, vcc_lo
	.loc	1 25 53                         ; matmul.py:25:53
	v_mad_u64_u32 v[18:19], null, v23, s8, v[22:23]
	.loc	1 22 68                         ; matmul.py:22:68
	v_subrev_nc_u32_e32 v19, s3, v24
	v_sub_nc_u32_e32 v20, v21, v20
	s_delay_alu instid0(VALU_DEP_4)
	v_xor_b32_e32 v23, s13, v25
	v_xor_b32_e32 v25, s13, v26
	v_cmp_le_u32_e32 vcc_lo, s3, v24
	.loc	1 29 22                         ; matmul.py:29:22
	v_lshlrev_b64 v[3:4], 1, v[3:4]
	.loc	1 22 68                         ; matmul.py:22:68
	v_subrev_nc_u32_e32 v27, s3, v20
	v_subrev_nc_u32_e32 v23, s13, v23
	v_mul_hi_u32 v26, v25, v45
	v_cndmask_b32_e32 v21, v24, v19, vcc_lo
	.loc	1 22 38 is_stmt 0               ; matmul.py:22:38
	v_or_b32_e32 v24, 0xb8, v47
	.loc	1 22 68                         ; matmul.py:22:68
	v_cmp_le_u32_e32 vcc_lo, s3, v20
	.loc	1 26 22 is_stmt 1               ; matmul.py:26:22
	v_ashrrev_i32_e32 v7, 31, v6
	.loc	1 29 22                         ; matmul.py:29:22
	scratch_store_b64 off, v[3:4], off offset:200 ; 8-byte Folded Spill
	.loc	1 22 68                         ; matmul.py:22:68
	v_xor_b32_e32 v28, s13, v21
	v_dual_cndmask_b32 v27, v20, v27 :: v_dual_add_nc_u32 v24, s13, v24
	v_mul_lo_u32 v26, v26, s3
	.loc	1 25 53                         ; matmul.py:25:53
	v_mad_u64_u32 v[20:21], null, v23, s8, v[22:23]
	s_delay_alu instid0(VALU_DEP_3) | instskip(NEXT) | instid1(VALU_DEP_4)
	.loc	1 22 68                         ; matmul.py:22:68
	v_xor_b32_e32 v29, s13, v24
	v_subrev_nc_u32_e32 v23, s3, v27
	v_cmp_le_u32_e32 vcc_lo, s3, v27
	v_add_nc_u32_e32 v24, 0xb0, v46
	v_subrev_nc_u32_e32 v21, s13, v28
	v_sub_nc_u32_e32 v25, v25, v26
	.loc	1 26 22                         ; matmul.py:26:22
	v_ashrrev_i32_e32 v2, 31, v1
	.loc	1 22 68                         ; matmul.py:22:68
	v_cndmask_b32_e32 v26, v27, v23, vcc_lo
	v_mul_hi_u32 v28, v29, v45
	v_xor_b32_e32 v27, s13, v24
	.loc	1 25 53                         ; matmul.py:25:53
	v_mad_u64_u32 v[23:24], null, v21, s8, v[22:23]
	.loc	1 22 68                         ; matmul.py:22:68
	v_subrev_nc_u32_e32 v24, s3, v25
	v_cmp_le_u32_e32 vcc_lo, s3, v25
	s_delay_alu instid0(VALU_DEP_4)
	v_mul_hi_u32 v30, v27, v45
	v_xor_b32_e32 v26, s13, v26
	v_mul_lo_u32 v28, v28, s3
	.loc	1 29 22                         ; matmul.py:29:22
	v_lshlrev_b64 v[1:2], 1, v[1:2]
	.loc	1 22 68                         ; matmul.py:22:68
	v_cndmask_b32_e32 v31, v25, v24, vcc_lo
	.loc	1 25 22                         ; matmul.py:25:22
	v_ashrrev_i32_e32 v9, 31, v8
	.loc	1 22 68                         ; matmul.py:22:68
	v_subrev_nc_u32_e32 v32, s13, v26
	.loc	1 25 22                         ; matmul.py:25:22
	v_ashrrev_i32_e32 v11, 31, v10
	v_ashrrev_i32_e32 v17, 31, v16
	.loc	1 22 68                         ; matmul.py:22:68
	v_cmp_le_u32_e32 vcc_lo, s3, v31
	v_sub_nc_u32_e32 v28, v29, v28
	v_mul_lo_u32 v29, v30, s3
	v_subrev_nc_u32_e32 v30, s3, v31
	.loc	1 25 53                         ; matmul.py:25:53
	v_mad_u64_u32 v[25:26], null, v32, s8, v[22:23]
	s_delay_alu instid0(VALU_DEP_4) | instskip(SKIP_1) | instid1(VALU_DEP_4)
	.loc	1 22 68                         ; matmul.py:22:68
	v_subrev_nc_u32_e32 v26, s3, v28
	v_add_nc_u32_e32 v32, 0xa8, v46
	v_cndmask_b32_e32 v30, v31, v30, vcc_lo
	v_cmp_le_u32_e32 vcc_lo, s3, v28
	v_sub_nc_u32_e32 v27, v27, v29
	.loc	1 29 22                         ; matmul.py:29:22
	scratch_store_b64 off, v[1:2], off offset:224 ; 8-byte Folded Spill
	.loc	1 22 68                         ; matmul.py:22:68
	v_xor_b32_e32 v29, s13, v32
	v_xor_b32_e32 v30, s13, v30
	v_cndmask_b32_e32 v28, v28, v26, vcc_lo
	v_subrev_nc_u32_e32 v31, s3, v27
	v_cmp_le_u32_e32 vcc_lo, s3, v27
	v_mul_hi_u32 v33, v29, v45
	v_subrev_nc_u32_e32 v30, s13, v30
	v_subrev_nc_u32_e32 v32, s3, v28
	.loc	1 29 22                         ; matmul.py:29:22
	v_lshlrev_b64 v[1:2], 1, v[8:9]
	.loc	1 22 68                         ; matmul.py:22:68
	v_cndmask_b32_e32 v27, v27, v31, vcc_lo
	v_cmp_le_u32_e32 vcc_lo, s3, v28
	.loc	1 25 22                         ; matmul.py:25:22
	v_ashrrev_i32_e32 v19, 31, v18
	v_ashrrev_i32_e32 v21, 31, v20
	.loc	1 22 68                         ; matmul.py:22:68
	v_mul_lo_u32 v33, v33, s3
	.loc	1 29 22                         ; matmul.py:29:22
	scratch_store_b64 off, v[1:2], off offset:232 ; 8-byte Folded Spill
	.loc	1 22 68                         ; matmul.py:22:68
	v_cndmask_b32_e32 v28, v28, v32, vcc_lo
	v_subrev_nc_u32_e32 v32, s3, v27
	v_cmp_le_u32_e32 vcc_lo, s3, v27
	v_add_nc_u32_e32 v31, 0xa0, v46
	.loc	1 29 22                         ; matmul.py:29:22
	v_lshlrev_b64 v[1:2], 1, v[10:11]
	.loc	1 22 68                         ; matmul.py:22:68
	v_xor_b32_e32 v35, s13, v28
	v_sub_nc_u32_e32 v29, v29, v33
	v_cndmask_b32_e32 v32, v27, v32, vcc_lo
	v_xor_b32_e32 v31, s13, v31
	v_xor_b32_e32 v33, s13, v34
	.loc	1 25 53                         ; matmul.py:25:53
	v_mad_u64_u32 v[27:28], null, v30, s8, v[22:23]
	.loc	1 22 68                         ; matmul.py:22:68
	v_subrev_nc_u32_e32 v34, s13, v35
	s_delay_alu instid0(VALU_DEP_4)
	v_mul_hi_u32 v36, v31, v45
	v_subrev_nc_u32_e32 v28, s3, v29
	v_cmp_le_u32_e32 vcc_lo, s3, v29
	v_xor_b32_e32 v32, s13, v32
	.loc	1 29 22                         ; matmul.py:29:22
	scratch_store_b64 off, v[1:2], off offset:240 ; 8-byte Folded Spill
	v_lshlrev_b64 v[1:2], 1, v[16:17]
	.loc	1 25 22                         ; matmul.py:25:22
	v_ashrrev_i32_e32 v24, 31, v23
	.loc	1 22 68                         ; matmul.py:22:68
	v_cndmask_b32_e32 v37, v29, v28, vcc_lo
	v_mul_lo_u32 v35, v36, s3
	v_mul_hi_u32 v36, v33, v45
	.loc	1 25 53                         ; matmul.py:25:53
	v_mad_u64_u32 v[29:30], null, v34, s8, v[22:23]
	.loc	1 22 68                         ; matmul.py:22:68
	v_subrev_nc_u32_e32 v30, s13, v32
	v_subrev_nc_u32_e32 v32, s3, v37
	v_cmp_le_u32_e32 vcc_lo, s3, v37
	.loc	1 29 22                         ; matmul.py:29:22
	scratch_store_b64 off, v[1:2], off offset:248 ; 8-byte Folded Spill
	.loc	1 22 68                         ; matmul.py:22:68
	v_sub_nc_u32_e32 v34, v31, v35
	v_mul_lo_u32 v35, v36, s3
	v_dual_cndmask_b32 v37, v37, v32 :: v_dual_add_nc_u32 v36, 0x90, v46
	.loc	1 25 53                         ; matmul.py:25:53
	v_mad_u64_u32 v[31:32], null, v30, s8, v[22:23]
	s_delay_alu instid0(VALU_DEP_4) | instskip(NEXT) | instid1(VALU_DEP_3)
	.loc	1 22 68                         ; matmul.py:22:68
	v_subrev_nc_u32_e32 v30, s3, v34
	v_xor_b32_e32 v36, s13, v36
	v_cmp_le_u32_e32 vcc_lo, s3, v34
	v_sub_nc_u32_e32 v33, v33, v35
	v_xor_b32_e32 v37, s13, v37
	.loc	1 29 22                         ; matmul.py:29:22
	v_lshlrev_b64 v[1:2], 1, v[18:19]
	.loc	1 22 68                         ; matmul.py:22:68
	v_mul_hi_u32 v35, v36, v45
	v_cndmask_b32_e32 v34, v34, v30, vcc_lo
	v_subrev_nc_u32_e32 v38, s3, v33
	v_cmp_le_u32_e32 vcc_lo, s3, v33
	v_subrev_nc_u32_e32 v37, s13, v37
	.loc	1 29 22                         ; matmul.py:29:22
	scratch_store_b64 off, v[1:2], off offset:256 ; 8-byte Folded Spill
	.loc	1 22 68                         ; matmul.py:22:68
	v_subrev_nc_u32_e32 v39, s3, v34
	.loc	1 29 22                         ; matmul.py:29:22
	v_lshlrev_b64 v[1:2], 1, v[20:21]
	.loc	1 22 68                         ; matmul.py:22:68
	v_cndmask_b32_e32 v38, v33, v38, vcc_lo
	v_cmp_le_u32_e32 vcc_lo, s3, v34
	v_mul_lo_u32 v35, v35, s3
	.loc	1 25 22                         ; matmul.py:25:22
	v_ashrrev_i32_e32 v26, 31, v25
	v_ashrrev_i32_e32 v28, 31, v27
	.loc	1 29 22                         ; matmul.py:29:22
	scratch_store_b64 off, v[1:2], off offset:264 ; 8-byte Folded Spill
	.loc	1 22 68                         ; matmul.py:22:68
	v_cndmask_b32_e32 v39, v34, v39, vcc_lo
	.loc	1 25 53                         ; matmul.py:25:53
	v_mad_u64_u32 v[33:34], null, v37, s8, v[22:23]
	.loc	1 22 68                         ; matmul.py:22:68
	v_subrev_nc_u32_e32 v34, s3, v38
	v_xor_b32_e32 v37, s13, v40
	v_cmp_le_u32_e32 vcc_lo, s3, v38
	v_sub_nc_u32_e32 v35, v36, v35
	v_xor_b32_e32 v39, s13, v39
	.loc	1 29 22                         ; matmul.py:29:22
	v_lshlrev_b64 v[1:2], 1, v[23:24]
	.loc	1 25 22                         ; matmul.py:25:22
	v_ashrrev_i32_e32 v30, 31, v29
	.loc	1 22 68                         ; matmul.py:22:68
	v_cndmask_b32_e32 v36, v38, v34, vcc_lo
	v_mul_hi_u32 v38, v37, v45
	v_subrev_nc_u32_e32 v40, s3, v35
	v_cmp_le_u32_e32 vcc_lo, s3, v35
	v_add_nc_u32_e32 v41, 0x80, v46
	v_subrev_nc_u32_e32 v39, s13, v39
	v_xor_b32_e32 v42, s13, v36
	.loc	1 29 22                         ; matmul.py:29:22
	scratch_store_b64 off, v[1:2], off offset:272 ; 8-byte Folded Spill
	.loc	1 22 68                         ; matmul.py:22:68
	v_cndmask_b32_e32 v40, v35, v40, vcc_lo
	v_mul_lo_u32 v38, v38, s3
	v_xor_b32_e32 v41, s13, v41
	.loc	1 25 53                         ; matmul.py:25:53
	v_mad_u64_u32 v[35:36], null, v39, s8, v[22:23]
	.loc	1 22 68                         ; matmul.py:22:68
	v_subrev_nc_u32_e32 v36, s13, v42
	v_subrev_nc_u32_e32 v39, s3, v40
	v_add_nc_u32_e32 v42, s13, v43
	v_mul_hi_u32 v43, v41, v45
	v_cmp_le_u32_e32 vcc_lo, s3, v40
	v_sub_nc_u32_e32 v44, v37, v38
	.loc	1 25 53                         ; matmul.py:25:53
	v_mad_u64_u32 v[37:38], null, v36, s8, v[22:23]
	.loc	1 22 68                         ; matmul.py:22:68
	v_xor_b32_e32 v42, s13, v42
	v_cndmask_b32_e32 v39, v40, v39, vcc_lo
	s_delay_alu instid0(VALU_DEP_4)
	v_subrev_nc_u32_e32 v36, s3, v44
	v_cmp_le_u32_e32 vcc_lo, s3, v44
	v_mul_lo_u32 v40, v43, s3
	v_mul_hi_u32 v43, v42, v45
	v_xor_b32_e32 v39, s13, v39
	.loc	1 29 22                         ; matmul.py:29:22
	v_lshlrev_b64 v[1:2], 1, v[25:26]
	.loc	1 22 68                         ; matmul.py:22:68
	v_cndmask_b32_e32 v44, v44, v36, vcc_lo
	.loc	1 25 22                         ; matmul.py:25:22
	v_ashrrev_i32_e32 v32, 31, v31
	v_ashrrev_i32_e32 v34, 31, v33
	.loc	1 22 68                         ; matmul.py:22:68
	v_subrev_nc_u32_e32 v48, s13, v39
	v_sub_nc_u32_e32 v41, v41, v40
	v_subrev_nc_u32_e32 v49, s3, v44
	v_cmp_le_u32_e32 vcc_lo, s3, v44
	v_mul_lo_u32 v43, v43, s3
	.loc	1 25 53                         ; matmul.py:25:53
	v_mad_u64_u32 v[39:40], null, v48, s8, v[22:23]
	.loc	1 22 68                         ; matmul.py:22:68
	v_subrev_nc_u32_e32 v40, s3, v41
	v_cndmask_b32_e32 v44, v44, v49, vcc_lo
	v_cmp_le_u32_e32 vcc_lo, s3, v41
	v_add_nc_u32_e32 v48, 0x70, v46
	.loc	1 29 22                         ; matmul.py:29:22
	scratch_store_b64 off, v[1:2], off offset:280 ; 8-byte Folded Spill
	v_lshlrev_b64 v[1:2], 1, v[27:28]
	.loc	1 22 68                         ; matmul.py:22:68
	v_xor_b32_e32 v44, s13, v44
	v_cndmask_b32_e32 v40, v41, v40, vcc_lo
	v_sub_nc_u32_e32 v41, v42, v43
	v_xor_b32_e32 v43, s13, v48
	v_add_nc_u32_e32 v42, 0x68, v46
	v_subrev_nc_u32_e32 v44, s13, v44
	v_subrev_nc_u32_e32 v48, s3, v40
	v_cmp_le_u32_e32 vcc_lo, s3, v40
	v_subrev_nc_u32_e32 v49, s3, v41
	v_mul_hi_u32 v50, v43, v45
	v_xor_b32_e32 v51, s13, v42
	.loc	1 29 22                         ; matmul.py:29:22
	scratch_store_b64 off, v[1:2], off offset:288 ; 8-byte Folded Spill
	.loc	1 22 68                         ; matmul.py:22:68
	v_cndmask_b32_e32 v40, v40, v48, vcc_lo
	v_cmp_le_u32_e32 vcc_lo, s3, v41
	.loc	1 29 22                         ; matmul.py:29:22
	v_lshlrev_b64 v[1:2], 1, v[29:30]
	.loc	1 25 22                         ; matmul.py:25:22
	v_ashrrev_i32_e32 v36, 31, v35
	v_ashrrev_i32_e32 v38, 31, v37
	.loc	1 22 68                         ; matmul.py:22:68
	v_mul_lo_u32 v50, v50, s3
	v_cndmask_b32_e32 v48, v41, v49, vcc_lo
	v_mul_hi_u32 v49, v51, v45
	v_xor_b32_e32 v52, s13, v40
	.loc	1 25 53                         ; matmul.py:25:53
	v_mad_u64_u32 v[41:42], null, v44, s8, v[22:23]
	s_delay_alu instid0(VALU_DEP_4) | instskip(SKIP_1) | instid1(VALU_DEP_4)
	.loc	1 22 68                         ; matmul.py:22:68
	v_subrev_nc_u32_e32 v42, s3, v48
	v_cmp_le_u32_e32 vcc_lo, s3, v48
	v_subrev_nc_u32_e32 v52, s13, v52
	v_sub_nc_u32_e32 v50, v43, v50
	v_mul_lo_u32 v49, v49, s3
	.loc	1 29 22                         ; matmul.py:29:22
	scratch_store_b64 off, v[1:2], off offset:296 ; 8-byte Folded Spill
	.loc	1 22 68                         ; matmul.py:22:68
	v_cndmask_b32_e32 v48, v48, v42, vcc_lo
	.loc	1 25 53                         ; matmul.py:25:53
	v_mad_u64_u32 v[43:44], null, v52, s8, v[22:23]
	.loc	1 22 38                         ; matmul.py:22:38
	v_or_b32_e32 v52, 0x58, v47
	.loc	1 22 68 is_stmt 0               ; matmul.py:22:68
	v_cmp_le_u32_e32 vcc_lo, s3, v50
	s_delay_alu instid0(VALU_DEP_4)
	v_xor_b32_e32 v44, s13, v48
	v_subrev_nc_u32_e32 v48, s3, v50
	v_sub_nc_u32_e32 v49, v51, v49
	v_add_nc_u32_e32 v51, 0x60, v46
	v_add_nc_u32_e32 v52, s13, v52
	v_subrev_nc_u32_e32 v44, s13, v44
	v_cndmask_b32_e32 v50, v50, v48, vcc_lo
	v_subrev_nc_u32_e32 v48, s3, v49
	v_xor_b32_e32 v51, s13, v51
	v_cmp_le_u32_e32 vcc_lo, s3, v49
	v_xor_b32_e32 v52, s13, v52
	v_subrev_nc_u32_e32 v53, s3, v50
	.loc	1 29 22 is_stmt 1               ; matmul.py:29:22
	v_lshlrev_b64 v[1:2], 1, v[31:32]
	.loc	1 22 68                         ; matmul.py:22:68
	v_mul_hi_u32 v55, v51, v45
	v_cndmask_b32_e32 v54, v49, v48, vcc_lo
	v_cmp_le_u32_e32 vcc_lo, s3, v50
	.loc	1 25 53                         ; matmul.py:25:53
	v_mad_u64_u32 v[48:49], null, v44, s8, v[22:23]
	.loc	1 29 22                         ; matmul.py:29:22
	scratch_store_b64 off, v[1:2], off offset:304 ; 8-byte Folded Spill
	v_lshlrev_b64 v[1:2], 1, v[33:34]
	.loc	1 22 68                         ; matmul.py:22:68
	v_cndmask_b32_e32 v49, v50, v53, vcc_lo
	v_mul_hi_u32 v50, v52, v45
	v_subrev_nc_u32_e32 v53, s3, v54
	v_mul_lo_u32 v55, v55, s3
	v_cmp_le_u32_e32 vcc_lo, s3, v54
	v_xor_b32_e32 v56, s13, v49
	.loc	1 29 22                         ; matmul.py:29:22
	scratch_store_b64 off, v[1:2], off offset:312 ; 8-byte Folded Spill
	v_lshlrev_b64 v[1:2], 1, v[35:36]
	.loc	1 25 22                         ; matmul.py:25:22
	v_ashrrev_i32_e32 v40, 31, v39
	.loc	1 22 68                         ; matmul.py:22:68
	v_cndmask_b32_e32 v53, v54, v53, vcc_lo
	v_mul_lo_u32 v54, v50, s3
	v_subrev_nc_u32_e32 v56, s13, v56
	v_sub_nc_u32_e32 v55, v51, v55
	.loc	1 29 22                         ; matmul.py:29:22
	scratch_store_b64 off, v[1:2], off offset:320 ; 8-byte Folded Spill
	.loc	1 22 68                         ; matmul.py:22:68
	v_xor_b32_e32 v53, s13, v53
	.loc	1 29 22                         ; matmul.py:29:22
	v_lshlrev_b64 v[1:2], 1, v[37:38]
	.loc	1 25 53                         ; matmul.py:25:53
	v_mad_u64_u32 v[50:51], null, v56, s8, v[22:23]
	.loc	1 22 68                         ; matmul.py:22:68
	v_subrev_nc_u32_e32 v51, s3, v55
	v_sub_nc_u32_e32 v54, v52, v54
	v_xor_b32_e32 v56, s13, v57
	v_cmp_le_u32_e32 vcc_lo, s3, v55
	v_subrev_nc_u32_e32 v57, s13, v53
	.loc	1 29 22                         ; matmul.py:29:22
	scratch_store_b64 off, v[1:2], off offset:328 ; 8-byte Folded Spill
	v_lshlrev_b64 v[1:2], 1, v[39:40]
	.loc	1 22 68                         ; matmul.py:22:68
	v_mul_hi_u32 v58, v56, v45
	v_cndmask_b32_e32 v51, v55, v51, vcc_lo
	v_subrev_nc_u32_e32 v55, s3, v54
	v_cmp_le_u32_e32 vcc_lo, s3, v54
	.loc	1 25 53                         ; matmul.py:25:53
	v_mad_u64_u32 v[52:53], null, v57, s8, v[22:23]
	s_delay_alu instid0(VALU_DEP_4)
	.loc	1 22 68                         ; matmul.py:22:68
	v_subrev_nc_u32_e32 v53, s3, v51
	.loc	1 25 22                         ; matmul.py:25:22
	v_ashrrev_i32_e32 v42, 31, v41
	.loc	1 22 68                         ; matmul.py:22:68
	v_cndmask_b32_e32 v54, v54, v55, vcc_lo
	v_xor_b32_e32 v55, s13, v59
	v_cmp_le_u32_e32 vcc_lo, s3, v51
	v_mul_lo_u32 v57, v58, s3
	.loc	1 29 22                         ; matmul.py:29:22
	scratch_store_b64 off, v[1:2], off offset:336 ; 8-byte Folded Spill
	.loc	1 22 68                         ; matmul.py:22:68
	v_subrev_nc_u32_e32 v60, s3, v54
	v_mul_hi_u32 v59, v55, v45
	v_cndmask_b32_e32 v58, v51, v53, vcc_lo
	v_cmp_le_u32_e32 vcc_lo, s3, v54
	.loc	1 29 22                         ; matmul.py:29:22
	v_lshlrev_b64 v[1:2], 1, v[41:42]
	.loc	1 25 22                         ; matmul.py:25:22
	v_ashrrev_i32_e32 v44, 31, v43
	.loc	1 22 68                         ; matmul.py:22:68
	v_sub_nc_u32_e32 v56, v56, v57
	v_dual_cndmask_b32 v54, v54, v60 :: v_dual_add_nc_u32 v57, 64, v46
	v_mul_lo_u32 v59, v59, s3
	v_xor_b32_e32 v58, s13, v58
	s_delay_alu instid0(VALU_DEP_4) | instskip(NEXT) | instid1(VALU_DEP_4)
	v_subrev_nc_u32_e32 v60, s3, v56
	v_xor_b32_e32 v62, s13, v57
	v_xor_b32_e32 v61, s13, v54
	.loc	1 22 38 is_stmt 0               ; matmul.py:22:38
	v_or_b32_e32 v54, 56, v47
	.loc	1 22 68                         ; matmul.py:22:68
	v_cmp_le_u32_e32 vcc_lo, s3, v56
	v_subrev_nc_u32_e32 v58, s13, v58
	v_sub_nc_u32_e32 v57, v55, v59
	v_mul_hi_u32 v59, v62, v45
	.loc	1 22 38                         ; matmul.py:22:38
	v_or_b32_e32 v47, 24, v47
	.loc	1 22 68                         ; matmul.py:22:68
	v_cndmask_b32_e32 v56, v56, v60, vcc_lo
	v_add_nc_u32_e32 v60, s13, v54
	.loc	1 25 53 is_stmt 1               ; matmul.py:25:53
	v_mad_u64_u32 v[54:55], null, v58, s8, v[22:23]
	.loc	1 22 68                         ; matmul.py:22:68
	v_subrev_nc_u32_e32 v55, s3, v57
	v_cmp_le_u32_e32 vcc_lo, s3, v57
	s_delay_alu instid0(VALU_DEP_4)
	v_xor_b32_e32 v60, s13, v60
	v_mul_lo_u32 v59, v59, s3
	v_subrev_nc_u32_e32 v58, s13, v61
	v_subrev_nc_u32_e32 v61, s3, v56
	v_cndmask_b32_e32 v55, v57, v55, vcc_lo
	v_cmp_le_u32_e32 vcc_lo, s3, v56
	v_mul_hi_u32 v63, v60, v45
	v_add_nc_u32_e32 v47, s13, v47
	.loc	1 29 22                         ; matmul.py:29:22
	scratch_store_b64 off, v[1:2], off offset:344 ; 8-byte Folded Spill
	.loc	1 22 68                         ; matmul.py:22:68
	v_subrev_nc_u32_e32 v64, s3, v55
	v_cndmask_b32_e32 v61, v56, v61, vcc_lo
	v_sub_nc_u32_e32 v59, v62, v59
	v_cmp_le_u32_e32 vcc_lo, s3, v55
	.loc	1 25 53                         ; matmul.py:25:53
	v_mad_u64_u32 v[56:57], null, v58, s8, v[22:23]
	.loc	1 22 68                         ; matmul.py:22:68
	v_mul_lo_u32 v62, v63, s3
	v_xor_b32_e32 v58, s13, v61
	v_cndmask_b32_e32 v61, v55, v64, vcc_lo
	v_subrev_nc_u32_e32 v63, s3, v59
	v_cmp_le_u32_e32 vcc_lo, s3, v59
	v_xor_b32_e32 v47, s13, v47
	v_subrev_nc_u32_e32 v64, s13, v58
	v_xor_b32_e32 v61, s13, v61
	v_sub_nc_u32_e32 v60, v60, v62
	v_dual_cndmask_b32 v63, v59, v63 :: v_dual_add_nc_u32 v62, 48, v46
	s_delay_alu instid0(VALU_DEP_4) | instskip(NEXT) | instid1(VALU_DEP_4)
	.loc	1 25 53                         ; matmul.py:25:53
	v_mad_u64_u32 v[58:59], null, v64, s8, v[22:23]
	.loc	1 22 68                         ; matmul.py:22:68
	v_subrev_nc_u32_e32 v64, s13, v61
	s_delay_alu instid0(VALU_DEP_3) | instskip(NEXT) | instid1(VALU_DEP_4)
	v_subrev_nc_u32_e32 v59, s3, v63
	v_xor_b32_e32 v65, s13, v62
	v_cmp_le_u32_e32 vcc_lo, s3, v63
	v_subrev_nc_u32_e32 v61, s3, v60
	v_add_nc_u32_e32 v62, 40, v46
	.loc	1 29 22                         ; matmul.py:29:22
	v_lshlrev_b64 v[1:2], 1, v[43:44]
	.loc	1 25 22                         ; matmul.py:25:22
	v_ashrrev_i32_e32 v49, 31, v48
	.loc	1 22 68                         ; matmul.py:22:68
	v_cndmask_b32_e32 v59, v63, v59, vcc_lo
	v_mul_hi_u32 v63, v65, v45
	v_cmp_le_u32_e32 vcc_lo, s3, v60
	v_xor_b32_e32 v67, s13, v62
	.loc	1 29 22                         ; matmul.py:29:22
	scratch_store_b64 off, v[1:2], off offset:352 ; 8-byte Folded Spill
	.loc	1 22 68                         ; matmul.py:22:68
	v_xor_b32_e32 v59, s13, v59
	.loc	1 29 22                         ; matmul.py:29:22
	v_lshlrev_b64 v[1:2], 1, v[48:49]
	.loc	1 22 68                         ; matmul.py:22:68
	v_cndmask_b32_e32 v66, v60, v61, vcc_lo
	.loc	1 25 53                         ; matmul.py:25:53
	v_mad_u64_u32 v[60:61], null, v64, s8, v[22:23]
	.loc	1 22 68                         ; matmul.py:22:68
	v_mul_lo_u32 v64, v63, s3
	v_subrev_nc_u32_e32 v59, s13, v59
	s_delay_alu instid0(VALU_DEP_4)
	v_subrev_nc_u32_e32 v61, s3, v66
	v_cmp_le_u32_e32 vcc_lo, s3, v66
	v_mul_hi_u32 v68, v67, v45
	.loc	1 25 22                         ; matmul.py:25:22
	v_ashrrev_i32_e32 v51, 31, v50
	.loc	1 25 53 is_stmt 0               ; matmul.py:25:53
	v_mad_u64_u32 v[62:63], null, v59, s8, v[22:23]
	.loc	1 22 68 is_stmt 1               ; matmul.py:22:68
	v_cndmask_b32_e32 v61, v66, v61, vcc_lo
	v_sub_nc_u32_e32 v64, v65, v64
	v_add_nc_u32_e32 v63, 32, v46
	.loc	1 29 22                         ; matmul.py:29:22
	scratch_store_b64 off, v[1:2], off offset:360 ; 8-byte Folded Spill
	.loc	1 22 68                         ; matmul.py:22:68
	v_mul_lo_u32 v66, v68, s3
	v_xor_b32_e32 v65, s13, v61
	v_subrev_nc_u32_e32 v69, s3, v64
	v_cmp_le_u32_e32 vcc_lo, s3, v64
	v_xor_b32_e32 v68, s13, v63
	.loc	1 29 22                         ; matmul.py:29:22
	v_lshlrev_b64 v[1:2], 1, v[50:51]
	.loc	1 22 68                         ; matmul.py:22:68
	v_subrev_nc_u32_e32 v70, s13, v65
	.loc	1 25 22                         ; matmul.py:25:22
	v_ashrrev_i32_e32 v53, 31, v52
	.loc	1 22 68                         ; matmul.py:22:68
	v_cndmask_b32_e32 v69, v64, v69, vcc_lo
	v_mul_hi_u32 v71, v68, v45
	v_sub_nc_u32_e32 v66, v67, v66
	.loc	1 25 53                         ; matmul.py:25:53
	v_mad_u64_u32 v[64:65], null, v70, s8, v[22:23]
	s_delay_alu instid0(VALU_DEP_4) | instskip(SKIP_1) | instid1(VALU_DEP_4)
	.loc	1 22 68                         ; matmul.py:22:68
	v_subrev_nc_u32_e32 v65, s3, v69
	v_cmp_le_u32_e32 vcc_lo, s3, v69
	v_subrev_nc_u32_e32 v67, s3, v66
	.loc	1 29 22                         ; matmul.py:29:22
	scratch_store_b64 off, v[1:2], off offset:368 ; 8-byte Folded Spill
	.loc	1 22 68                         ; matmul.py:22:68
	v_mul_lo_u32 v70, v71, s3
	v_add_nc_u32_e32 v71, 16, v46
	v_cndmask_b32_e32 v69, v69, v65, vcc_lo
	v_cmp_le_u32_e32 vcc_lo, s3, v66
	.loc	1 29 22                         ; matmul.py:29:22
	v_lshlrev_b64 v[1:2], 1, v[52:53]
	.loc	1 25 22                         ; matmul.py:25:22
	v_ashrrev_i32_e32 v55, 31, v54
	.loc	1 22 68                         ; matmul.py:22:68
	v_xor_b32_e32 v71, s13, v71
	.loc	1 25 22                         ; matmul.py:25:22
	v_ashrrev_i32_e32 v57, 31, v56
	.loc	1 22 68                         ; matmul.py:22:68
	v_cndmask_b32_e32 v66, v66, v67, vcc_lo
	v_xor_b32_e32 v67, s13, v69
	v_sub_nc_u32_e32 v68, v68, v70
	v_mul_hi_u32 v70, v47, v45
	v_mul_hi_u32 v74, v71, v45
	v_subrev_nc_u32_e32 v69, s3, v66
	v_cmp_le_u32_e32 vcc_lo, s3, v66
	v_subrev_nc_u32_e32 v72, s13, v67
	v_subrev_nc_u32_e32 v67, s3, v68
	.loc	1 29 22                         ; matmul.py:29:22
	scratch_store_b64 off, v[1:2], off offset:376 ; 8-byte Folded Spill
	v_lshlrev_b64 v[1:2], 1, v[54:55]
	.loc	1 22 68                         ; matmul.py:22:68
	v_cndmask_b32_e32 v69, v66, v69, vcc_lo
	v_cmp_le_u32_e32 vcc_lo, s3, v68
	v_mul_lo_u32 v70, v70, s3
	.loc	1 25 22                         ; matmul.py:25:22
	v_ashrrev_i32_e32 v59, 31, v58
	v_ashrrev_i32_e32 v61, 31, v60
	.loc	1 22 68                         ; matmul.py:22:68
	v_xor_b32_e32 v69, s13, v69
	v_cndmask_b32_e32 v68, v68, v67, vcc_lo
	.loc	1 25 53                         ; matmul.py:25:53
	v_mad_u64_u32 v[66:67], null, v72, s8, v[22:23]
	.loc	1 22 68                         ; matmul.py:22:68
	v_xor_b32_e32 v72, s13, v73
	v_xor_b32_e32 v73, s13, v46
	v_sub_nc_u32_e32 v47, v47, v70
	v_mul_lo_u32 v70, v74, s3
	v_subrev_nc_u32_e32 v46, s3, v68
	v_mul_hi_u32 v74, v72, v45
	v_cmp_le_u32_e32 vcc_lo, s3, v68
	v_mul_hi_u32 v45, v73, v45
	v_subrev_nc_u32_e32 v69, s13, v69
	.loc	1 29 22                         ; matmul.py:29:22
	scratch_store_b64 off, v[1:2], off offset:384 ; 8-byte Folded Spill
	v_lshlrev_b64 v[1:2], 1, v[56:57]
	.loc	1 22 68                         ; matmul.py:22:68
	v_cndmask_b32_e32 v68, v68, v46, vcc_lo
	v_subrev_nc_u32_e32 v46, s3, v47
	v_cmp_le_u32_e32 vcc_lo, s3, v47
	v_sub_nc_u32_e32 v70, v71, v70
	v_mul_lo_u32 v71, v74, s3
	v_mul_lo_u32 v74, v45, s3
	.loc	1 29 22                         ; matmul.py:29:22
	scratch_store_b64 off, v[1:2], off offset:392 ; 8-byte Folded Spill
	.loc	1 22 68                         ; matmul.py:22:68
	v_cndmask_b32_e32 v47, v47, v46, vcc_lo
	.loc	1 25 53                         ; matmul.py:25:53
	v_mad_u64_u32 v[45:46], null, v69, s8, v[22:23]
	.loc	1 22 68                         ; matmul.py:22:68
	v_xor_b32_e32 v46, s13, v68
	v_subrev_nc_u32_e32 v68, s3, v70
	v_cmp_le_u32_e32 vcc_lo, s3, v70
	v_sub_nc_u32_e32 v69, v72, v71
	v_sub_nc_u32_e32 v72, v73, v74
	v_subrev_nc_u32_e32 v46, s13, v46
	.loc	1 29 22                         ; matmul.py:29:22
	v_lshlrev_b64 v[1:2], 1, v[58:59]
	.loc	1 22 68                         ; matmul.py:22:68
	v_cndmask_b32_e32 v68, v70, v68, vcc_lo
	v_subrev_nc_u32_e32 v71, s3, v47
	v_cmp_le_u32_e32 vcc_lo, s3, v47
	v_subrev_nc_u32_e32 v70, s3, v69
	.loc	1 25 22                         ; matmul.py:25:22
	v_ashrrev_i32_e32 v63, 31, v62
	.loc	1 22 68                         ; matmul.py:22:68
	v_subrev_nc_u32_e32 v73, s3, v68
	.loc	1 29 22                         ; matmul.py:29:22
	scratch_store_b64 off, v[1:2], off offset:400 ; 8-byte Folded Spill
	.loc	1 22 68                         ; matmul.py:22:68
	v_cndmask_b32_e32 v47, v47, v71, vcc_lo
	v_cmp_le_u32_e32 vcc_lo, s3, v69
	v_subrev_nc_u32_e32 v71, s3, v72
	.loc	1 29 22                         ; matmul.py:29:22
	v_lshlrev_b64 v[1:2], 1, v[60:61]
	.loc	1 25 22                         ; matmul.py:25:22
	v_ashrrev_i32_e32 v65, 31, v64
	.loc	1 22 68                         ; matmul.py:22:68
	v_xor_b32_e32 v47, s13, v47
	v_cndmask_b32_e32 v69, v69, v70, vcc_lo
	v_cmp_le_u32_e32 vcc_lo, s3, v72
	.loc	1 25 22                         ; matmul.py:25:22
	v_ashrrev_i32_e32 v67, 31, v66
	.loc	1 29 22                         ; matmul.py:29:22
	scratch_store_b64 off, v[1:2], off offset:408 ; 8-byte Folded Spill
	v_lshlrev_b64 v[1:2], 1, v[62:63]
	v_dual_mov_b32 v17, 0 :: v_dual_cndmask_b32 v70, v72, v71
	.loc	1 22 68                         ; matmul.py:22:68
	v_cmp_le_u32_e32 vcc_lo, s3, v68
	v_subrev_nc_u32_e32 v71, s3, v69
	v_mov_b32_e32 v9, 0
	.loc	1 29 22                         ; matmul.py:29:22
	scratch_store_b64 off, v[1:2], off offset:416 ; 8-byte Folded Spill
	.loc	1 22 68                         ; matmul.py:22:68
	v_subrev_nc_u32_e32 v72, s3, v70
	v_cndmask_b32_e32 v68, v68, v73, vcc_lo
	v_cmp_le_u32_e32 vcc_lo, s3, v69
	.loc	1 29 22                         ; matmul.py:29:22
	v_lshlrev_b64 v[1:2], 1, v[64:65]
	v_mov_b32_e32 v25, 0
	v_mov_b32_e32 v33, 0
	.loc	1 22 68                         ; matmul.py:22:68
	v_xor_b32_e32 v73, s13, v68
	v_cndmask_b32_e32 v71, v69, v71, vcc_lo
	v_cmp_le_u32_e32 vcc_lo, s3, v70
	.loc	1 25 53                         ; matmul.py:25:53
	v_mad_u64_u32 v[68:69], null, v46, s8, v[22:23]
	.loc	1 22 68                         ; matmul.py:22:68
	v_subrev_nc_u32_e32 v46, s13, v47
	s_delay_alu instid0(VALU_DEP_4)
	v_xor_b32_e32 v47, s13, v71
	v_cndmask_b32_e32 v70, v70, v72, vcc_lo
	v_subrev_nc_u32_e32 v69, s13, v73
	.loc	1 29 22                         ; matmul.py:29:22
	scratch_store_b64 off, v[1:2], off offset:424 ; 8-byte Folded Spill
	v_lshlrev_b64 v[1:2], 1, v[66:67]
	v_mov_b32_e32 v41, 0
	.loc	1 22 68                         ; matmul.py:22:68
	v_xor_b32_e32 v74, s13, v70
	.loc	1 25 53                         ; matmul.py:25:53
	v_mad_u64_u32 v[70:71], null, v46, s8, v[22:23]
	.loc	1 22 68                         ; matmul.py:22:68
	v_subrev_nc_u32_e32 v46, s13, v47
	.loc	1 25 53                         ; matmul.py:25:53
	v_mad_u64_u32 v[72:73], null, v69, s8, v[22:23]
	s_delay_alu instid0(VALU_DEP_4)
	.loc	1 22 68                         ; matmul.py:22:68
	v_subrev_nc_u32_e32 v47, s13, v74
	.loc	1 29 22                         ; matmul.py:29:22
	scratch_store_b64 off, v[1:2], off offset:432 ; 8-byte Folded Spill
	.loc	1 25 53                         ; matmul.py:25:53
	v_mad_u64_u32 v[74:75], null, v46, s8, v[22:23]
	v_lshlrev_b32_e32 v46, 3, v97
	v_mad_u64_u32 v[76:77], null, v47, s8, v[22:23]
	v_lshlrev_b32_e32 v22, 6, v98
	.loc	1 25 22 is_stmt 0               ; matmul.py:25:22
	v_ashrrev_i32_e32 v69, 31, v68
	s_delay_alu instid0(VALU_DEP_4)
	v_and_b32_e32 v47, 48, v46
	v_ashrrev_i32_e32 v46, 31, v45
	v_ashrrev_i32_e32 v71, 31, v70
	;; [unrolled: 1-line block ×4, first 2 shown]
	v_or3_b32 v255, v22, v47, v0
	v_xor_b32_e32 v22, v81, v100
	.loc	1 29 22 is_stmt 1               ; matmul.py:29:22
	v_mad_u64_u32 v[80:81], null, s10, v82, v[5:6]
	v_mad_u64_u32 v[82:83], null, s10, v84, v[5:6]
	v_mad_u64_u32 v[84:85], null, s10, v86, v[5:6]
	v_mad_u64_u32 v[86:87], null, s10, v104, v[5:6]
	s_delay_alu instid0(VALU_DEP_4)
	v_ashrrev_i32_e32 v81, 31, v80
	v_lshlrev_b64 v[1:2], 1, v[45:46]
	v_ashrrev_i32_e32 v83, 31, v82
	.loc	1 25 22                         ; matmul.py:25:22
	v_ashrrev_i32_e32 v77, 31, v76
	.loc	1 29 22                         ; matmul.py:29:22
	v_ashrrev_i32_e32 v85, 31, v84
	v_lshlrev_b64 v[78:79], 1, v[80:81]
	scratch_store_b64 off, v[14:15], off offset:112 ; 8-byte Folded Spill
	v_mad_u64_u32 v[14:15], null, s10, v103, v[5:6]
	v_lshlrev_b64 v[12:13], 1, v[84:85]
	v_ashrrev_i32_e32 v87, 31, v86
	scratch_store_b64 off, v[78:79], off offset:120 ; 8-byte Folded Spill
	v_lshlrev_b64 v[78:79], 1, v[82:83]
	v_mad_u64_u32 v[82:83], null, s10, v95, v[5:6]
	v_ashrrev_i32_e32 v15, 31, v14
	v_mad_u64_u32 v[84:85], null, s10, v94, v[5:6]
	v_mad_u64_u32 v[80:81], null, s10, v96, v[5:6]
	s_delay_alu instid0(VALU_DEP_3)
	v_lshlrev_b64 v[14:15], 1, v[14:15]
	scratch_store_b64 off, v[12:13], off offset:144 ; 8-byte Folded Spill
	v_lshlrev_b64 v[12:13], 1, v[86:87]
	scratch_store_b64 off, v[78:79], off offset:128 ; 8-byte Folded Spill
	v_mad_u64_u32 v[78:79], null, s10, v101, v[5:6]
	v_ashrrev_i32_e32 v83, 31, v82
	v_ashrrev_i32_e32 v85, 31, v84
	s_clause 0x1                            ; 12-byte Folded Spill
	scratch_store_b64 off, v[12:13], off offset:152
	scratch_store_b32 off, v97, off offset:480
	v_mad_u64_u32 v[12:13], null, s10, v102, v[5:6]
	v_lshlrev_b64 v[5:6], 1, v[6:7]
	v_lshlrev_b64 v[3:4], 1, v[82:83]
	v_ashrrev_i32_e32 v79, 31, v78
	v_ashrrev_i32_e32 v81, 31, v80
	scratch_store_b64 off, v[1:2], off offset:440 ; 8-byte Folded Spill
	v_lshlrev_b64 v[1:2], 1, v[68:69]
	v_ashrrev_i32_e32 v13, 31, v12
	s_clause 0x2                            ; 20-byte Folded Spill
	scratch_store_b64 off, v[5:6], off offset:168
	scratch_store_b32 off, v98, off offset:484
	scratch_store_b64 off, v[3:4], off offset:208
	v_lshlrev_b64 v[3:4], 1, v[84:85]
	v_lshlrev_b64 v[5:6], 1, v[12:13]
	scratch_store_b64 off, v[1:2], off offset:464 ; 8-byte Folded Spill
	v_lshlrev_b64 v[1:2], 1, v[70:71]
	v_xor_b32_e32 v47, 16, v255
	v_xor_b32_e32 v88, 32, v255
	s_clause 0x1                            ; 16-byte Folded Spill
	scratch_store_b64 off, v[3:4], off offset:216
	scratch_store_b64 off, v[5:6], off offset:176
	v_lshlrev_b64 v[5:6], 1, v[78:79]
	scratch_store_b64 off, v[1:2], off offset:472 ; 8-byte Folded Spill
	v_lshlrev_b64 v[1:2], 1, v[72:73]
	v_xor_b32_e32 v89, 48, v255
	v_lshlrev_b64 v[252:253], 1, v[76:77]
	s_clause 0x2                            ; 20-byte Folded Spill
	scratch_store_b64 off, v[14:15], off offset:160
	scratch_store_b64 off, v[5:6], off offset:184
	scratch_store_b32 off, v99, off offset:488
	v_lshlrev_b64 v[5:6], 1, v[80:81]
	scratch_store_b64 off, v[1:2], off offset:448 ; 8-byte Folded Spill
	v_lshlrev_b64 v[1:2], 1, v[74:75]
	v_add_nc_u32_e32 v227, 0, v22
	v_dual_mov_b32 v49, 0 :: v_dual_add_nc_u32 v228, 0, v47
	s_clause 0x2                            ; 20-byte Folded Spill
	scratch_store_b64 off, v[5:6], off offset:192
	scratch_store_b32 off, v100, off offset:492
	scratch_store_b64 off, v[1:2], off offset:456
	v_mov_b32_e32 v2, 0
	v_add_nc_u32_e32 v0, 0, v99
	v_add_nc_u32_e32 v229, 0, v88
	;; [unrolled: 1-line block ×3, first 2 shown]
	s_delay_alu instid0(VALU_DEP_4)
	v_dual_mov_b32 v6, v2 :: v_dual_add_nc_u32 v231, 0, v90
	v_dual_mov_b32 v21, v2 :: v_dual_add_nc_u32 v232, 0, v91
	;; [unrolled: 1-line block ×4, first 2 shown]
	v_mov_b32_e32 v1, 0
	v_mov_b32_e32 v3, v2
	;; [unrolled: 1-line block ×5, first 2 shown]
	v_lshl_add_u32 v0, v98, 1, v0
	v_mov_b32_e32 v18, v2
	v_mov_b32_e32 v19, v2
	;; [unrolled: 1-line block ×7, first 2 shown]
	v_dual_mov_b32 v12, v2 :: v_dual_mov_b32 v57, 0
	v_mov_b32_e32 v13, v2
	v_dual_mov_b32 v14, v2 :: v_dual_mov_b32 v65, 0
	v_mov_b32_e32 v15, v2
	v_dual_mov_b32 v16, v2 :: v_dual_mov_b32 v73, 0
	v_dual_mov_b32 v26, v2 :: v_dual_mov_b32 v81, 0
	v_mov_b32_e32 v27, v2
	v_dual_mov_b32 v28, v2 :: v_dual_mov_b32 v89, 0
	v_mov_b32_e32 v29, v2
	;; [unrolled: 2-line block ×3, first 2 shown]
	v_mov_b32_e32 v32, v2
	v_mov_b32_e32 v34, v2
	;; [unrolled: 1-line block ×85, first 2 shown]
	s_ashr_i32 s3, s2, 31
	s_ashr_i32 s13, s12, 31
	s_lshl_b64 s[8:9], s[2:3], 1
	s_lshl_b64 s[10:11], s[12:13], 1
	s_clause 0x1                            ; 32-byte Folded Spill
	scratch_store_b128 off, v[9:12], off
	scratch_store_b128 off, v[13:16], off offset:16
	s_branch .LBB0_3
.LBB0_2:                                ;   in Loop: Header=BB0_3 Depth=1
	.loc	1 0 22 is_stmt 0                ; matmul.py:0:22
	s_or_b32 exec_lo, exec_lo, s2
	.loc	1 30 20 is_stmt 1               ; matmul.py:30:20
	v_add_nc_u32_e32 v9, 0, v255
	s_waitcnt vmcnt(0)
	s_waitcnt_vscnt null, 0x0
	s_barrier
	buffer_gl0_inv
	ds_store_b16 v227, v129
	ds_store_b16 v227, v131 offset:512
	ds_store_b16 v227, v130 offset:1024
	;; [unrolled: 1-line block ×31, first 2 shown]
	s_waitcnt lgkmcnt(0)
	s_barrier
	buffer_gl0_inv
	ds_load_b128 v[181:184], v228
	ds_load_b128 v[177:180], v9
	ds_load_b128 v[169:172], v9 offset:4096
	ds_load_b128 v[173:176], v228 offset:4096
	;; [unrolled: 1-line block ×6, first 2 shown]
	ds_load_b128 v[133:136], v230
	ds_load_b128 v[129:132], v229
	ds_load_b128 v[137:140], v229 offset:4096
	ds_load_b128 v[141:144], v230 offset:4096
	ds_load_b128 v[149:152], v230 offset:8192
	ds_load_b128 v[145:148], v229 offset:8192
	ds_load_b128 v[153:156], v229 offset:12288
	ds_load_b128 v[157:160], v230 offset:12288
	.loc	1 29 22                         ; matmul.py:29:22
	s_add_u32 s6, s6, s8
	s_addc_u32 s7, s7, s9
	s_add_u32 s4, s4, s10
	s_addc_u32 s5, s5, s11
	s_add_i32 s17, s17, -1
	s_sub_i32 s16, s16, 32
	s_cmp_lg_u32 s17, 0
	.loc	1 31 20                         ; matmul.py:31:20
	s_waitcnt lgkmcnt(0)
	s_barrier
	buffer_gl0_inv
	scratch_load_b32 v9, off, off offset:100 ; 4-byte Folded Reload
	s_waitcnt vmcnt(0)
	v_add_nc_u32_e32 v9, 0, v9
	ds_store_b16 v9, v235
	ds_store_b16 v9, v237 offset:512
	ds_store_b16 v9, v236 offset:1024
	ds_store_b16 v9, v239 offset:2048
	ds_store_b16 v9, v241 offset:2560
	ds_store_b16 v9, v240 offset:3072
	ds_store_b16 v9, v243 offset:4096
	ds_store_b16 v9, v245 offset:4608
	ds_store_b16 v9, v244 offset:5120
	ds_store_b16 v9, v247 offset:6144
	ds_store_b16 v9, v249 offset:6656
	ds_store_b16 v9, v248 offset:7168
	ds_store_b16 v231, v238
	ds_store_b16 v232, v242
	ds_store_b16 v233, v246
	ds_store_b16 v234, v250
	s_waitcnt lgkmcnt(0)
	s_barrier
	buffer_gl0_inv
	ds_load_u16 v237, v0 offset:1216
	ds_load_u16 v236, v0 offset:704
	ds_load_u16 v243, v0
	ds_load_u16 v247, v0 offset:2048
	ds_load_u16 v196, v0 offset:1664
	;; [unrolled: 1-line block ×16, first 2 shown]
	s_waitcnt lgkmcnt(17)
	ds_load_u16_d16_hi v236, v0 offset:960
	ds_load_u16 v235, v0 offset:192
	ds_load_u16 v201, v0 offset:64
	s_waitcnt lgkmcnt(19)
	ds_load_u16_d16_hi v243, v0 offset:256
	s_waitcnt lgkmcnt(18)
	ds_load_u16_d16_hi v196, v0 offset:1920
	ds_load_u16_d16_hi v247, v0 offset:2304
	s_waitcnt lgkmcnt(19)
	ds_load_u16_d16_hi v197, v0 offset:2432
	s_waitcnt lgkmcnt(19)
	;; [unrolled: 2-line block ×10, first 2 shown]
	ds_load_u16_d16_hi v246, v0 offset:1792
	ds_load_u16 v238, v0 offset:1728
	ds_load_u16 v239, v0 offset:2240
	;; [unrolled: 1-line block ×4, first 2 shown]
	s_waitcnt lgkmcnt(23)
	ds_load_u16_d16_hi v200, v0 offset:3968
	ds_load_u16 v209, v0 offset:4096
	ds_load_u16 v217, v0 offset:4224
	;; [unrolled: 1-line block ×3, first 2 shown]
	s_waitcnt lgkmcnt(21)
	ds_load_u16_d16_hi v201, v0 offset:320
	ds_load_u16_d16_hi v193, v0 offset:384
	;; [unrolled: 1-line block ×3, first 2 shown]
	ds_load_u16 v203, v0 offset:1088
	ds_load_u16_d16_hi v202, v0 offset:832
	ds_load_u16_d16_hi v194, v0 offset:896
	ds_load_u16 v210, v0 offset:4608
	ds_load_u16 v211, v0 offset:5120
	;; [unrolled: 1-line block ×13, first 2 shown]
	s_waitcnt lgkmcnt(21)
	ds_load_u16_d16_hi v209, v0 offset:4352
	.loc	1 32 35                         ; matmul.py:32:35
	v_wmma_f32_16x16x16_f16 v[1:8], v[243:250], v[177:184], v[1:8]
	v_wmma_f32_16x16x16_f16 v[33:40], v[243:250], v[169:176], v[33:40]
	;; [unrolled: 1-line block ×4, first 2 shown]
	s_clause 0x1                            ; 32-byte Folded Reload
	scratch_load_b128 v[244:247], off, off
	scratch_load_b128 v[248:251], off, off offset:16
	.loc	1 31 20                         ; matmul.py:31:20
	ds_load_u16 v204, v0 offset:1600
	ds_load_u16 v205, v0 offset:2112
	;; [unrolled: 1-line block ×5, first 2 shown]
	s_waitcnt lgkmcnt(21)
	ds_load_u16_d16_hi v203, v0 offset:1344
	ds_load_u16_d16_hi v237, v0 offset:1472
	.loc	1 32 35                         ; matmul.py:32:35
	s_waitcnt lgkmcnt(21)
	v_wmma_f32_16x16x16_f16 v[49:56], v[193:200], v[169:176], v[49:56]
	v_wmma_f32_16x16x16_f16 v[81:88], v[193:200], v[161:168], v[81:88]
	;; [unrolled: 1-line block ×3, first 2 shown]
	.loc	1 31 20                         ; matmul.py:31:20
	s_waitcnt lgkmcnt(6)
	ds_load_u16_d16_hi v204, v0 offset:1856
	ds_load_u16_d16_hi v238, v0 offset:1984
	s_waitcnt lgkmcnt(7)
	ds_load_u16_d16_hi v205, v0 offset:2368
	ds_load_u16_d16_hi v239, v0 offset:2496
	;; [unrolled: 3-line block ×5, first 2 shown]
	ds_load_u16 v218, v0 offset:4736
	ds_load_u16_d16_hi v217, v0 offset:4480
	ds_load_u16 v243, v0 offset:4160
	ds_load_u16 v9, v0 offset:4288
	ds_load_u16_d16_hi v210, v0 offset:4864
	s_waitcnt lgkmcnt(4)
	ds_load_u16_d16_hi v218, v0 offset:4992
	ds_load_u16_d16_hi v211, v0 offset:5376
	;; [unrolled: 1-line block ×13, first 2 shown]
	ds_load_u16 v10, v0 offset:4800
	ds_load_u16 v11, v0 offset:5312
	;; [unrolled: 1-line block ×7, first 2 shown]
	.loc	1 32 35                         ; matmul.py:32:35
	v_wmma_f32_16x16x16_f16 v[17:24], v[201:208], v[177:184], v[17:24]
	v_wmma_f32_16x16x16_f16 v[25:32], v[235:242], v[177:184], v[25:32]
	;; [unrolled: 1-line block ×8, first 2 shown]
	s_waitcnt lgkmcnt(8)
	v_wmma_f32_16x16x16_f16 v[1:8], v[209:216], v[129:136], v[1:8]
	v_wmma_f32_16x16x16_f16 v[33:40], v[209:216], v[137:144], v[33:40]
	;; [unrolled: 1-line block ×4, first 2 shown]
	s_waitcnt lgkmcnt(7)
	v_wmma_f32_16x16x16_f16 v[49:56], v[217:224], v[137:144], v[49:56]
	v_wmma_f32_16x16x16_f16 v[81:88], v[217:224], v[145:152], v[81:88]
	;; [unrolled: 1-line block ×3, first 2 shown]
	s_waitcnt vmcnt(0)
	v_wmma_f32_16x16x16_f16 v[244:251], v[193:200], v[177:184], v[244:251]
	s_delay_alu instid0(VALU_DEP_1)
	v_wmma_f32_16x16x16_f16 v[244:251], v[217:224], v[129:136], v[244:251]
	s_clause 0x1                            ; 32-byte Folded Spill
	scratch_store_b128 off, v[244:247], off
	scratch_store_b128 off, v[248:251], off offset:16
	.loc	1 31 20                         ; matmul.py:31:20
	ds_load_u16 v244, v0 offset:4672
	ds_load_u16 v245, v0 offset:5184
	;; [unrolled: 1-line block ×7, first 2 shown]
	ds_load_u16_d16_hi v243, v0 offset:4416
	ds_load_u16_d16_hi v9, v0 offset:4544
	s_waitcnt lgkmcnt(8)
	ds_load_u16_d16_hi v244, v0 offset:4928
	ds_load_u16_d16_hi v10, v0 offset:5056
	s_waitcnt lgkmcnt(9)
	;; [unrolled: 3-line block ×7, first 2 shown]
	ds_load_u16_d16_hi v250, v0 offset:8000
	ds_load_u16_d16_hi v16, v0 offset:8128
	.loc	1 32 35                         ; matmul.py:32:35
	s_waitcnt lgkmcnt(1)
	v_nop
	v_wmma_f32_16x16x16_f16 v[17:24], v[243:250], v[129:136], v[17:24]
	s_waitcnt lgkmcnt(0)
	v_wmma_f32_16x16x16_f16 v[25:32], v[9:16], v[129:136], v[25:32]
	v_wmma_f32_16x16x16_f16 v[41:48], v[243:250], v[137:144], v[41:48]
	;; [unrolled: 1-line block ×7, first 2 shown]
	.loc	1 29 22                         ; matmul.py:29:22
	s_cbranch_scc0 .LBB0_99
.LBB0_3:                                ; =>This Inner Loop Header: Depth=1
	.loc	1 30 51                         ; matmul.py:30:51
	scratch_load_b32 v9, off, off offset:32 ; 4-byte Folded Reload
	v_mov_b32_e32 v129, 0
	s_waitcnt vmcnt(0)
	v_cmp_gt_i32_e32 vcc_lo, s16, v9
	.loc	1 30 20 is_stmt 0               ; matmul.py:30:20
	s_and_saveexec_b32 s3, vcc_lo
	s_cbranch_execz .LBB0_5
; %bb.4:                                ;   in Loop: Header=BB0_3 Depth=1
	.loc	1 30 59                         ; matmul.py:30:59
	v_add_co_u32 v9, s2, s4, v252
	s_delay_alu instid0(VALU_DEP_1)
	v_add_co_ci_u32_e64 v10, null, s5, v253, s2
	.loc	1 30 20                         ; matmul.py:30:20
	global_load_u16 v129, v[9:10], off
.LBB0_5:                                ;   in Loop: Header=BB0_3 Depth=1
	.loc	1 0 20                          ; matmul.py:0:20
	s_or_b32 exec_lo, exec_lo, s3
	v_dual_mov_b32 v130, 0 :: v_dual_mov_b32 v131, 0
	.loc	1 30 20                         ; matmul.py:30:20
	s_and_saveexec_b32 s3, vcc_lo
	s_cbranch_execz .LBB0_7
; %bb.6:                                ;   in Loop: Header=BB0_3 Depth=1
	.loc	1 0 20                          ; matmul.py:0:20
	scratch_load_b64 v[9:10], off, off offset:456 ; 8-byte Folded Reload
	.loc	1 30 59                         ; matmul.py:30:59
	s_waitcnt vmcnt(0)
	v_add_co_u32 v9, s2, s4, v9
	s_delay_alu instid0(VALU_DEP_1)
	v_add_co_ci_u32_e64 v10, null, s5, v10, s2
	.loc	1 30 20                         ; matmul.py:30:20
	global_load_u16 v131, v[9:10], off
.LBB0_7:                                ;   in Loop: Header=BB0_3 Depth=1
	.loc	1 0 20                          ; matmul.py:0:20
	s_or_b32 exec_lo, exec_lo, s3
	.loc	1 30 20                         ; matmul.py:30:20
	s_and_saveexec_b32 s3, vcc_lo
	s_cbranch_execz .LBB0_9
; %bb.8:                                ;   in Loop: Header=BB0_3 Depth=1
	.loc	1 0 20                          ; matmul.py:0:20
	scratch_load_b64 v[9:10], off, off offset:448 ; 8-byte Folded Reload
	.loc	1 30 59                         ; matmul.py:30:59
	s_waitcnt vmcnt(0)
	v_add_co_u32 v9, s2, s4, v9
	s_delay_alu instid0(VALU_DEP_1)
	v_add_co_ci_u32_e64 v10, null, s5, v10, s2
	.loc	1 30 20                         ; matmul.py:30:20
	global_load_u16 v130, v[9:10], off
.LBB0_9:                                ;   in Loop: Header=BB0_3 Depth=1
	.loc	1 0 20                          ; matmul.py:0:20
	s_or_b32 exec_lo, exec_lo, s3
	v_dual_mov_b32 v132, 0 :: v_dual_mov_b32 v133, 0
	.loc	1 30 20                         ; matmul.py:30:20
	s_and_saveexec_b32 s3, vcc_lo
	s_cbranch_execz .LBB0_11
; %bb.10:                               ;   in Loop: Header=BB0_3 Depth=1
	.loc	1 0 20                          ; matmul.py:0:20
	scratch_load_b64 v[9:10], off, off offset:472 ; 8-byte Folded Reload
	.loc	1 30 59                         ; matmul.py:30:59
	s_waitcnt vmcnt(0)
	v_add_co_u32 v9, s2, s4, v9
	s_delay_alu instid0(VALU_DEP_1)
	v_add_co_ci_u32_e64 v10, null, s5, v10, s2
	.loc	1 30 20                         ; matmul.py:30:20
	global_load_u16 v133, v[9:10], off
.LBB0_11:                               ;   in Loop: Header=BB0_3 Depth=1
	.loc	1 0 20                          ; matmul.py:0:20
	s_or_b32 exec_lo, exec_lo, s3
	.loc	1 30 20                         ; matmul.py:30:20
	s_and_saveexec_b32 s3, vcc_lo
	s_cbranch_execz .LBB0_13
; %bb.12:                               ;   in Loop: Header=BB0_3 Depth=1
	.loc	1 0 20                          ; matmul.py:0:20
	scratch_load_b64 v[9:10], off, off offset:464 ; 8-byte Folded Reload
	.loc	1 30 59                         ; matmul.py:30:59
	s_waitcnt vmcnt(0)
	v_add_co_u32 v9, s2, s4, v9
	s_delay_alu instid0(VALU_DEP_1)
	v_add_co_ci_u32_e64 v10, null, s5, v10, s2
	.loc	1 30 20                         ; matmul.py:30:20
	global_load_u16 v132, v[9:10], off
.LBB0_13:                               ;   in Loop: Header=BB0_3 Depth=1
	.loc	1 0 20                          ; matmul.py:0:20
	s_or_b32 exec_lo, exec_lo, s3
	v_dual_mov_b32 v134, 0 :: v_dual_mov_b32 v135, 0
	.loc	1 30 20                         ; matmul.py:30:20
	s_and_saveexec_b32 s3, vcc_lo
	s_cbranch_execz .LBB0_15
; %bb.14:                               ;   in Loop: Header=BB0_3 Depth=1
	.loc	1 0 20                          ; matmul.py:0:20
	scratch_load_b64 v[9:10], off, off offset:440 ; 8-byte Folded Reload
	.loc	1 30 59                         ; matmul.py:30:59
	s_waitcnt vmcnt(0)
	v_add_co_u32 v9, s2, s4, v9
	s_delay_alu instid0(VALU_DEP_1)
	v_add_co_ci_u32_e64 v10, null, s5, v10, s2
	.loc	1 30 20                         ; matmul.py:30:20
	global_load_u16 v135, v[9:10], off
.LBB0_15:                               ;   in Loop: Header=BB0_3 Depth=1
	.loc	1 0 20                          ; matmul.py:0:20
	s_or_b32 exec_lo, exec_lo, s3
	.loc	1 30 20                         ; matmul.py:30:20
	s_and_saveexec_b32 s3, vcc_lo
	s_cbranch_execz .LBB0_17
; %bb.16:                               ;   in Loop: Header=BB0_3 Depth=1
	.loc	1 0 20                          ; matmul.py:0:20
	scratch_load_b64 v[9:10], off, off offset:432 ; 8-byte Folded Reload
	.loc	1 30 59                         ; matmul.py:30:59
	s_waitcnt vmcnt(0)
	v_add_co_u32 v9, s2, s4, v9
	s_delay_alu instid0(VALU_DEP_1)
	v_add_co_ci_u32_e64 v10, null, s5, v10, s2
	.loc	1 30 20                         ; matmul.py:30:20
	global_load_u16 v134, v[9:10], off
.LBB0_17:                               ;   in Loop: Header=BB0_3 Depth=1
	;; [unrolled: 33-line block ×14, first 2 shown]
	.loc	1 0 20                          ; matmul.py:0:20
	s_or_b32 exec_lo, exec_lo, s3
	v_dual_mov_b32 v235, 0 :: v_dual_mov_b32 v160, 0
	.loc	1 30 20                         ; matmul.py:30:20
	s_and_saveexec_b32 s2, vcc_lo
	s_cbranch_execz .LBB0_67
; %bb.66:                               ;   in Loop: Header=BB0_3 Depth=1
	.loc	1 0 20                          ; matmul.py:0:20
	scratch_load_b64 v[9:10], off, off offset:232 ; 8-byte Folded Reload
	.loc	1 30 59                         ; matmul.py:30:59
	s_waitcnt vmcnt(0)
	v_add_co_u32 v9, vcc_lo, s4, v9
	s_delay_alu instid0(VALU_DEP_1)
	v_add_co_ci_u32_e64 v10, null, s5, v10, vcc_lo
	.loc	1 30 20                         ; matmul.py:30:20
	global_load_u16 v160, v[9:10], off
.LBB0_67:                               ;   in Loop: Header=BB0_3 Depth=1
	.loc	1 0 20                          ; matmul.py:0:20
	s_or_b32 exec_lo, exec_lo, s2
	.loc	1 31 51 is_stmt 1               ; matmul.py:31:51
	scratch_load_b32 v9, off, off offset:36 ; 4-byte Folded Reload
	.loc	1 31 20 is_stmt 0               ; matmul.py:31:20
	s_mov_b32 s2, exec_lo
	.loc	1 31 51                         ; matmul.py:31:51
	s_waitcnt vmcnt(0)
	v_cmpx_gt_i32_e64 s16, v9
	.loc	1 31 20                         ; matmul.py:31:20
	s_cbranch_execz .LBB0_69
; %bb.68:                               ;   in Loop: Header=BB0_3 Depth=1
	.loc	1 0 20                          ; matmul.py:0:20
	scratch_load_b64 v[9:10], off, off offset:224 ; 8-byte Folded Reload
	.loc	1 30 59 is_stmt 1               ; matmul.py:30:59
	s_waitcnt vmcnt(0)
	v_add_co_u32 v9, vcc_lo, s6, v9
	s_delay_alu instid0(VALU_DEP_1)
	v_add_co_ci_u32_e64 v10, null, s7, v10, vcc_lo
	.loc	1 31 20                         ; matmul.py:31:20
	global_load_u16 v235, v[9:10], off
.LBB0_69:                               ;   in Loop: Header=BB0_3 Depth=1
	.loc	1 0 20 is_stmt 0                ; matmul.py:0:20
	s_or_b32 exec_lo, exec_lo, s2
	.loc	1 31 51                         ; matmul.py:31:51
	scratch_load_b32 v9, off, off offset:40 ; 4-byte Folded Reload
	v_dual_mov_b32 v236, 0 :: v_dual_mov_b32 v237, 0
	.loc	1 31 20                         ; matmul.py:31:20
	s_mov_b32 s2, exec_lo
	.loc	1 31 51                         ; matmul.py:31:51
	s_waitcnt vmcnt(0)
	v_cmpx_gt_i32_e64 s16, v9
	.loc	1 31 20                         ; matmul.py:31:20
	s_cbranch_execz .LBB0_71
; %bb.70:                               ;   in Loop: Header=BB0_3 Depth=1
	.loc	1 0 20                          ; matmul.py:0:20
	scratch_load_b64 v[9:10], off, off offset:216 ; 8-byte Folded Reload
	.loc	1 30 59 is_stmt 1               ; matmul.py:30:59
	s_waitcnt vmcnt(0)
	v_add_co_u32 v9, vcc_lo, s6, v9
	s_delay_alu instid0(VALU_DEP_1)
	v_add_co_ci_u32_e64 v10, null, s7, v10, vcc_lo
	.loc	1 31 20                         ; matmul.py:31:20
	global_load_u16 v237, v[9:10], off
.LBB0_71:                               ;   in Loop: Header=BB0_3 Depth=1
	.loc	1 0 20 is_stmt 0                ; matmul.py:0:20
	s_or_b32 exec_lo, exec_lo, s2
	.loc	1 31 51                         ; matmul.py:31:51
	scratch_load_b32 v9, off, off offset:44 ; 4-byte Folded Reload
	.loc	1 31 20                         ; matmul.py:31:20
	s_mov_b32 s2, exec_lo
	.loc	1 31 51                         ; matmul.py:31:51
	s_waitcnt vmcnt(0)
	v_cmpx_gt_i32_e64 s16, v9
	.loc	1 31 20                         ; matmul.py:31:20
	s_cbranch_execz .LBB0_73
; %bb.72:                               ;   in Loop: Header=BB0_3 Depth=1
	.loc	1 0 20                          ; matmul.py:0:20
	scratch_load_b64 v[9:10], off, off offset:208 ; 8-byte Folded Reload
	.loc	1 30 59 is_stmt 1               ; matmul.py:30:59
	s_waitcnt vmcnt(0)
	v_add_co_u32 v9, vcc_lo, s6, v9
	s_delay_alu instid0(VALU_DEP_1)
	v_add_co_ci_u32_e64 v10, null, s7, v10, vcc_lo
	.loc	1 31 20                         ; matmul.py:31:20
	global_load_u16 v236, v[9:10], off
.LBB0_73:                               ;   in Loop: Header=BB0_3 Depth=1
	.loc	1 0 20 is_stmt 0                ; matmul.py:0:20
	s_or_b32 exec_lo, exec_lo, s2
	.loc	1 31 51                         ; matmul.py:31:51
	scratch_load_b32 v9, off, off offset:48 ; 4-byte Folded Reload
	v_dual_mov_b32 v239, 0 :: v_dual_mov_b32 v238, 0
	.loc	1 31 20                         ; matmul.py:31:20
	s_mov_b32 s2, exec_lo
	.loc	1 31 51                         ; matmul.py:31:51
	s_waitcnt vmcnt(0)
	v_cmpx_gt_i32_e64 s16, v9
	.loc	1 31 20                         ; matmul.py:31:20
	s_cbranch_execz .LBB0_75
; %bb.74:                               ;   in Loop: Header=BB0_3 Depth=1
	.loc	1 0 20                          ; matmul.py:0:20
	scratch_load_b64 v[9:10], off, off offset:200 ; 8-byte Folded Reload
	.loc	1 30 59 is_stmt 1               ; matmul.py:30:59
	s_waitcnt vmcnt(0)
	v_add_co_u32 v9, vcc_lo, s6, v9
	s_delay_alu instid0(VALU_DEP_1)
	v_add_co_ci_u32_e64 v10, null, s7, v10, vcc_lo
	.loc	1 31 20                         ; matmul.py:31:20
	global_load_u16 v238, v[9:10], off
.LBB0_75:                               ;   in Loop: Header=BB0_3 Depth=1
	.loc	1 0 20 is_stmt 0                ; matmul.py:0:20
	s_or_b32 exec_lo, exec_lo, s2
	.loc	1 31 51                         ; matmul.py:31:51
	scratch_load_b32 v9, off, off offset:52 ; 4-byte Folded Reload
	.loc	1 31 20                         ; matmul.py:31:20
	;; [unrolled: 45-line block ×7, first 2 shown]
	s_mov_b32 s2, exec_lo
	.loc	1 31 51                         ; matmul.py:31:51
	s_waitcnt vmcnt(0)
	v_cmpx_gt_i32_e64 s16, v9
	.loc	1 31 20                         ; matmul.py:31:20
	s_cbranch_execz .LBB0_97
; %bb.96:                               ;   in Loop: Header=BB0_3 Depth=1
	.loc	1 0 20                          ; matmul.py:0:20
	scratch_load_b64 v[9:10], off, off offset:112 ; 8-byte Folded Reload
	.loc	1 30 59 is_stmt 1               ; matmul.py:30:59
	s_waitcnt vmcnt(0)
	v_add_co_u32 v9, vcc_lo, s6, v9
	s_delay_alu instid0(VALU_DEP_1)
	v_add_co_ci_u32_e64 v10, null, s7, v10, vcc_lo
	.loc	1 31 20                         ; matmul.py:31:20
	global_load_u16 v248, v[9:10], off
.LBB0_97:                               ;   in Loop: Header=BB0_3 Depth=1
	.loc	1 0 20 is_stmt 0                ; matmul.py:0:20
	s_or_b32 exec_lo, exec_lo, s2
	.loc	1 31 51                         ; matmul.py:31:51
	scratch_load_b32 v9, off, off offset:96 ; 4-byte Folded Reload
	v_mov_b32_e32 v250, 0
	.loc	1 31 20                         ; matmul.py:31:20
	s_mov_b32 s2, exec_lo
	.loc	1 31 51                         ; matmul.py:31:51
	s_waitcnt vmcnt(0)
	v_cmpx_gt_i32_e64 s16, v9
	.loc	1 31 20                         ; matmul.py:31:20
	s_cbranch_execz .LBB0_2
; %bb.98:                               ;   in Loop: Header=BB0_3 Depth=1
	.loc	1 0 20                          ; matmul.py:0:20
	scratch_load_b64 v[9:10], off, off offset:104 ; 8-byte Folded Reload
	.loc	1 30 59 is_stmt 1               ; matmul.py:30:59
	s_waitcnt vmcnt(0)
	v_add_co_u32 v9, vcc_lo, s6, v9
	s_delay_alu instid0(VALU_DEP_1)
	v_add_co_ci_u32_e64 v10, null, s7, v10, vcc_lo
	.loc	1 31 20                         ; matmul.py:31:20
	global_load_u16 v250, v[9:10], off
	s_branch .LBB0_2
.LBB0_99:                               ; %._crit_edge.loopexit
	.loc	1 35 23                         ; matmul.py:35:23
	v_cvt_f16_f32_e64 v215, v17
	v_cvt_f16_f32_e64 v214, v18
	;; [unrolled: 1-line block ×4, first 2 shown]
	s_clause 0x1                            ; 32-byte Folded Reload
	scratch_load_b128 v[13:16], off, off
	scratch_load_b128 v[17:20], off, off offset:16
	v_cvt_f16_f32_e64 v132, v92
	v_cvt_f16_f32_e64 v131, v93
	;; [unrolled: 1-line block ×4, first 2 shown]
	v_cvt_f16_f32_e32 v95, v97
	v_cvt_f16_f32_e32 v94, v98
	;; [unrolled: 1-line block ×4, first 2 shown]
	s_clause 0x3                            ; 16-byte Folded Reload
	scratch_load_b32 v97, off, off offset:480
	scratch_load_b32 v98, off, off offset:484
	;; [unrolled: 1-line block ×4, first 2 shown]
	v_cvt_f16_f32_e32 v11, v2
	v_cvt_f16_f32_e32 v9, v3
	;; [unrolled: 1-line block ×4, first 2 shown]
	v_cvt_f16_f32_e64 v218, v6
	v_cvt_f16_f32_e64 v217, v7
	;; [unrolled: 1-line block ×74, first 2 shown]
	v_cvt_f16_f32_e32 v96, v96
	v_cvt_f16_f32_e32 v91, v101
	v_cvt_f16_f32_e32 v90, v102
	v_cvt_f16_f32_e32 v89, v103
	v_cvt_f16_f32_e32 v88, v104
	v_cvt_f16_f32_e32 v87, v105
	v_cvt_f16_f32_e32 v86, v106
	v_cvt_f16_f32_e32 v85, v107
	v_cvt_f16_f32_e32 v84, v108
	v_cvt_f16_f32_e32 v83, v109
	v_cvt_f16_f32_e32 v82, v110
	v_cvt_f16_f32_e32 v81, v111
	v_cvt_f16_f32_e32 v80, v112
	v_cvt_f16_f32_e32 v79, v113
	v_cvt_f16_f32_e32 v78, v114
	v_cvt_f16_f32_e32 v77, v115
	v_cvt_f16_f32_e32 v76, v116
	v_cvt_f16_f32_e32 v75, v117
	v_cvt_f16_f32_e32 v74, v118
	v_cvt_f16_f32_e32 v73, v119
	v_cvt_f16_f32_e32 v72, v120
	v_cvt_f16_f32_e32 v71, v121
	v_cvt_f16_f32_e32 v70, v122
	v_cvt_f16_f32_e32 v69, v123
	v_cvt_f16_f32_e32 v68, v124
	v_cvt_f16_f32_e32 v67, v125
	v_cvt_f16_f32_e32 v66, v126
	v_cvt_f16_f32_e32 v65, v127
	v_cvt_f16_f32_e64 v64, v128
	v_cvt_f16_f32_e32 v2, v1
	s_waitcnt vmcnt(5)
	v_cvt_f16_f32_e64 v207, v13
	v_cvt_f16_f32_e64 v206, v14
	;; [unrolled: 1-line block ×4, first 2 shown]
	s_waitcnt vmcnt(4)
	v_cvt_f16_f32_e64 v203, v17
	v_cvt_f16_f32_e64 v202, v18
	;; [unrolled: 1-line block ×4, first 2 shown]
.LBB0_100:                              ; %Flow
	.loc	1 0 23 is_stmt 0                ; matmul.py:0:23
	s_load_b64 s[34:35], s[0:1], 0x34
	.loc	1 23 51 is_stmt 1               ; matmul.py:23:51
	s_waitcnt vmcnt(3)
	v_bfe_u32 v0, v97, 4, 1
	s_waitcnt vmcnt(1)
	v_lshrrev_b32_e32 v1, 1, v99
	.loc	1 22 38                         ; matmul.py:22:38
	s_waitcnt vmcnt(0)
	v_or3_b32 v97, v100, v98, s15
	s_delay_alu instid0(VALU_DEP_2) | instskip(NEXT) | instid1(VALU_DEP_2)
	.loc	1 23 38                         ; matmul.py:23:38
	v_or3_b32 v62, v0, v1, s14
	.loc	1 40 33                         ; matmul.py:40:33
	v_cmp_gt_i32_e64 s31, s38, v97
	s_delay_alu instid0(VALU_DEP_2) | instskip(SKIP_3) | instid1(VALU_DEP_2)
	.loc	1 40 58 is_stmt 0               ; matmul.py:40:58
	v_cmp_gt_i32_e32 vcc_lo, s39, v62
	.loc	1 39 33 is_stmt 1               ; matmul.py:39:33
	s_waitcnt lgkmcnt(0)
	v_mul_lo_u32 v0, v97, s34
	.loc	1 39 64 is_stmt 0               ; matmul.py:39:64
	v_mul_lo_u32 v3, v62, s35
	.loc	1 39 21                         ; matmul.py:39:21
	v_ashrrev_i32_e32 v1, 31, v0
	s_delay_alu instid0(VALU_DEP_2) | instskip(NEXT) | instid1(VALU_DEP_2)
	.loc	1 39 52                         ; matmul.py:39:52
	v_ashrrev_i32_e32 v4, 31, v3
	.loc	1 39 21                         ; matmul.py:39:21
	v_lshlrev_b64 v[5:6], 1, v[0:1]
	s_delay_alu instid0(VALU_DEP_2) | instskip(NEXT) | instid1(VALU_DEP_2)
	v_lshlrev_b64 v[0:1], 1, v[3:4]
	v_add_co_u32 v98, s0, s36, v5
	s_delay_alu instid0(VALU_DEP_1) | instskip(SKIP_1) | instid1(SALU_CYCLE_1)
	v_add_co_ci_u32_e64 v99, null, s37, v6, s0
	.loc	1 40 39 is_stmt 1               ; matmul.py:40:39
	s_and_b32 s0, s31, vcc_lo
	.loc	1 41 21                         ; matmul.py:41:21
	s_and_saveexec_b32 s1, s0
	s_cbranch_execz .LBB0_102
; %bb.101:
	.loc	1 0 21 is_stmt 0                ; matmul.py:0:21
	v_add_co_u32 v3, s0, v98, v0
	s_delay_alu instid0(VALU_DEP_1)
	v_add_co_ci_u32_e64 v4, null, v99, v1, s0
	.loc	1 41 21                         ; matmul.py:41:21
	global_store_b16 v[3:4], v2, off
.LBB0_102:
	.loc	1 0 21                          ; matmul.py:0:21
	s_or_b32 exec_lo, exec_lo, s1
	.loc	1 23 38 is_stmt 1               ; matmul.py:23:38
	v_or_b32_e32 v4, 2, v62
	s_delay_alu instid0(VALU_DEP_1) | instskip(SKIP_3) | instid1(VALU_DEP_1)
	.loc	1 39 64                         ; matmul.py:39:64
	v_mul_lo_u32 v2, s35, v4
	.loc	1 40 58                         ; matmul.py:40:58
	v_cmp_gt_i32_e64 s0, s39, v4
	.loc	1 40 39 is_stmt 0               ; matmul.py:40:39
	s_and_b32 s1, s0, s31
	.loc	1 39 52 is_stmt 1               ; matmul.py:39:52
	v_ashrrev_i32_e32 v3, 31, v2
	v_lshlrev_b64 v[2:3], 1, v[2:3]
	.loc	1 41 21                         ; matmul.py:41:21
	s_and_saveexec_b32 s2, s1
	s_cbranch_execz .LBB0_104
; %bb.103:
	.loc	1 0 21 is_stmt 0                ; matmul.py:0:21
	s_delay_alu instid0(VALU_DEP_1) | instskip(NEXT) | instid1(VALU_DEP_1)
	.loc	1 39 52 is_stmt 1               ; matmul.py:39:52
	v_add_co_u32 v4, s1, v98, v2
	v_add_co_ci_u32_e64 v5, null, v99, v3, s1
	.loc	1 41 21                         ; matmul.py:41:21
	global_store_b16 v[4:5], v11, off
.LBB0_104:
	.loc	1 0 21 is_stmt 0                ; matmul.py:0:21
	s_or_b32 exec_lo, exec_lo, s2
	.loc	1 23 38 is_stmt 1               ; matmul.py:23:38
	v_or_b32_e32 v6, 4, v62
	s_delay_alu instid0(VALU_DEP_1) | instskip(SKIP_3) | instid1(VALU_DEP_1)
	.loc	1 39 64                         ; matmul.py:39:64
	v_mul_lo_u32 v4, s35, v6
	.loc	1 40 58                         ; matmul.py:40:58
	v_cmp_gt_i32_e64 s1, s39, v6
	.loc	1 40 39 is_stmt 0               ; matmul.py:40:39
	s_and_b32 s2, s1, s31
	.loc	1 39 52 is_stmt 1               ; matmul.py:39:52
	v_ashrrev_i32_e32 v5, 31, v4
	v_lshlrev_b64 v[4:5], 1, v[4:5]
	.loc	1 41 21                         ; matmul.py:41:21
	s_and_saveexec_b32 s3, s2
	s_cbranch_execz .LBB0_106
; %bb.105:
	.loc	1 0 21 is_stmt 0                ; matmul.py:0:21
	s_delay_alu instid0(VALU_DEP_1) | instskip(NEXT) | instid1(VALU_DEP_1)
	.loc	1 39 52 is_stmt 1               ; matmul.py:39:52
	v_add_co_u32 v6, s2, v98, v4
	v_add_co_ci_u32_e64 v7, null, v99, v5, s2
	.loc	1 41 21                         ; matmul.py:41:21
	global_store_b16 v[6:7], v9, off
.LBB0_106:
	.loc	1 0 21 is_stmt 0                ; matmul.py:0:21
	s_or_b32 exec_lo, exec_lo, s3
	.loc	1 23 38 is_stmt 1               ; matmul.py:23:38
	v_or_b32_e32 v8, 6, v62
	s_delay_alu instid0(VALU_DEP_1) | instskip(SKIP_3) | instid1(VALU_DEP_1)
	.loc	1 39 64                         ; matmul.py:39:64
	v_mul_lo_u32 v6, s35, v8
	.loc	1 40 58                         ; matmul.py:40:58
	v_cmp_gt_i32_e64 s2, s39, v8
	.loc	1 40 39 is_stmt 0               ; matmul.py:40:39
	s_and_b32 s3, s2, s31
	.loc	1 39 52 is_stmt 1               ; matmul.py:39:52
	v_ashrrev_i32_e32 v7, 31, v6
	v_lshlrev_b64 v[6:7], 1, v[6:7]
	.loc	1 41 21                         ; matmul.py:41:21
	s_and_saveexec_b32 s4, s3
	s_cbranch_execz .LBB0_108
; %bb.107:
	.loc	1 0 21 is_stmt 0                ; matmul.py:0:21
	s_delay_alu instid0(VALU_DEP_1) | instskip(NEXT) | instid1(VALU_DEP_1)
	.loc	1 39 52 is_stmt 1               ; matmul.py:39:52
	v_add_co_u32 v8, s3, v98, v6
	v_add_co_ci_u32_e64 v9, null, v99, v7, s3
	.loc	1 41 21                         ; matmul.py:41:21
	global_store_b16 v[8:9], v10, off
.LBB0_108:
	.loc	1 0 21 is_stmt 0                ; matmul.py:0:21
	s_or_b32 exec_lo, exec_lo, s4
	.loc	1 23 38 is_stmt 1               ; matmul.py:23:38
	v_or_b32_e32 v10, 8, v62
	s_delay_alu instid0(VALU_DEP_1) | instskip(SKIP_3) | instid1(VALU_DEP_1)
	.loc	1 39 64                         ; matmul.py:39:64
	v_mul_lo_u32 v8, s35, v10
	.loc	1 40 58                         ; matmul.py:40:58
	v_cmp_gt_i32_e64 s3, s39, v10
	.loc	1 40 39 is_stmt 0               ; matmul.py:40:39
	s_and_b32 s4, s3, s31
	.loc	1 39 52 is_stmt 1               ; matmul.py:39:52
	v_ashrrev_i32_e32 v9, 31, v8
	v_lshlrev_b64 v[8:9], 1, v[8:9]
	.loc	1 41 21                         ; matmul.py:41:21
	s_and_saveexec_b32 s5, s4
	s_cbranch_execz .LBB0_110
; %bb.109:
	.loc	1 0 21 is_stmt 0                ; matmul.py:0:21
	s_delay_alu instid0(VALU_DEP_1) | instskip(NEXT) | instid1(VALU_DEP_1)
	.loc	1 39 52 is_stmt 1               ; matmul.py:39:52
	v_add_co_u32 v10, s4, v98, v8
	v_add_co_ci_u32_e64 v11, null, v99, v9, s4
	.loc	1 41 21                         ; matmul.py:41:21
	global_store_b16 v[10:11], v12, off
.LBB0_110:
	.loc	1 0 21 is_stmt 0                ; matmul.py:0:21
	s_or_b32 exec_lo, exec_lo, s5
	.loc	1 23 38 is_stmt 1               ; matmul.py:23:38
	v_or_b32_e32 v12, 10, v62
	s_delay_alu instid0(VALU_DEP_1) | instskip(SKIP_3) | instid1(VALU_DEP_1)
	.loc	1 39 64                         ; matmul.py:39:64
	v_mul_lo_u32 v10, s35, v12
	.loc	1 40 58                         ; matmul.py:40:58
	v_cmp_gt_i32_e64 s4, s39, v12
	.loc	1 40 39 is_stmt 0               ; matmul.py:40:39
	s_and_b32 s5, s4, s31
	.loc	1 39 52 is_stmt 1               ; matmul.py:39:52
	v_ashrrev_i32_e32 v11, 31, v10
	v_lshlrev_b64 v[10:11], 1, v[10:11]
	.loc	1 41 21                         ; matmul.py:41:21
	s_and_saveexec_b32 s6, s5
	s_cbranch_execz .LBB0_112
; %bb.111:
	.loc	1 0 21 is_stmt 0                ; matmul.py:0:21
	s_delay_alu instid0(VALU_DEP_1) | instskip(NEXT) | instid1(VALU_DEP_1)
	.loc	1 39 52 is_stmt 1               ; matmul.py:39:52
	v_add_co_u32 v12, s5, v98, v10
	v_add_co_ci_u32_e64 v13, null, v99, v11, s5
	.loc	1 41 21                         ; matmul.py:41:21
	global_store_b16 v[12:13], v218, off
.LBB0_112:
	.loc	1 0 21 is_stmt 0                ; matmul.py:0:21
	s_or_b32 exec_lo, exec_lo, s6
	.loc	1 23 38 is_stmt 1               ; matmul.py:23:38
	v_or_b32_e32 v14, 12, v62
	s_delay_alu instid0(VALU_DEP_1) | instskip(SKIP_3) | instid1(VALU_DEP_1)
	.loc	1 39 64                         ; matmul.py:39:64
	v_mul_lo_u32 v12, s35, v14
	.loc	1 40 58                         ; matmul.py:40:58
	v_cmp_gt_i32_e64 s5, s39, v14
	.loc	1 40 39 is_stmt 0               ; matmul.py:40:39
	s_and_b32 s6, s5, s31
	.loc	1 39 52 is_stmt 1               ; matmul.py:39:52
	v_ashrrev_i32_e32 v13, 31, v12
	v_lshlrev_b64 v[12:13], 1, v[12:13]
	.loc	1 41 21                         ; matmul.py:41:21
	s_and_saveexec_b32 s7, s6
	s_cbranch_execz .LBB0_114
; %bb.113:
	.loc	1 0 21 is_stmt 0                ; matmul.py:0:21
	s_delay_alu instid0(VALU_DEP_1) | instskip(NEXT) | instid1(VALU_DEP_1)
	.loc	1 39 52 is_stmt 1               ; matmul.py:39:52
	v_add_co_u32 v14, s6, v98, v12
	v_add_co_ci_u32_e64 v15, null, v99, v13, s6
	.loc	1 41 21                         ; matmul.py:41:21
	global_store_b16 v[14:15], v217, off
.LBB0_114:
	.loc	1 0 21 is_stmt 0                ; matmul.py:0:21
	s_or_b32 exec_lo, exec_lo, s7
	.loc	1 23 38 is_stmt 1               ; matmul.py:23:38
	v_or_b32_e32 v16, 14, v62
	s_delay_alu instid0(VALU_DEP_1) | instskip(SKIP_3) | instid1(VALU_DEP_1)
	.loc	1 39 64                         ; matmul.py:39:64
	v_mul_lo_u32 v14, s35, v16
	.loc	1 40 58                         ; matmul.py:40:58
	v_cmp_gt_i32_e64 s6, s39, v16
	.loc	1 40 39 is_stmt 0               ; matmul.py:40:39
	s_and_b32 s7, s6, s31
	.loc	1 39 52 is_stmt 1               ; matmul.py:39:52
	v_ashrrev_i32_e32 v15, 31, v14
	v_lshlrev_b64 v[14:15], 1, v[14:15]
	.loc	1 41 21                         ; matmul.py:41:21
	s_and_saveexec_b32 s8, s7
	s_cbranch_execz .LBB0_116
; %bb.115:
	.loc	1 0 21 is_stmt 0                ; matmul.py:0:21
	s_delay_alu instid0(VALU_DEP_1) | instskip(NEXT) | instid1(VALU_DEP_1)
	.loc	1 39 52 is_stmt 1               ; matmul.py:39:52
	v_add_co_u32 v16, s7, v98, v14
	v_add_co_ci_u32_e64 v17, null, v99, v15, s7
	.loc	1 41 21                         ; matmul.py:41:21
	global_store_b16 v[16:17], v216, off
.LBB0_116:
	.loc	1 0 21 is_stmt 0                ; matmul.py:0:21
	s_or_b32 exec_lo, exec_lo, s8
	.loc	1 23 38 is_stmt 1               ; matmul.py:23:38
	v_or_b32_e32 v18, 32, v62
	s_delay_alu instid0(VALU_DEP_1) | instskip(SKIP_3) | instid1(VALU_DEP_1)
	.loc	1 39 64                         ; matmul.py:39:64
	v_mul_lo_u32 v16, s35, v18
	.loc	1 40 58                         ; matmul.py:40:58
	v_cmp_gt_i32_e64 s7, s39, v18
	.loc	1 40 39 is_stmt 0               ; matmul.py:40:39
	s_and_b32 s8, s7, s31
	.loc	1 39 52 is_stmt 1               ; matmul.py:39:52
	v_ashrrev_i32_e32 v17, 31, v16
	v_lshlrev_b64 v[16:17], 1, v[16:17]
	.loc	1 41 21                         ; matmul.py:41:21
	s_and_saveexec_b32 s9, s8
	s_cbranch_execz .LBB0_118
; %bb.117:
	.loc	1 0 21 is_stmt 0                ; matmul.py:0:21
	s_delay_alu instid0(VALU_DEP_1) | instskip(NEXT) | instid1(VALU_DEP_1)
	.loc	1 39 52 is_stmt 1               ; matmul.py:39:52
	v_add_co_u32 v18, s8, v98, v16
	v_add_co_ci_u32_e64 v19, null, v99, v17, s8
	.loc	1 41 21                         ; matmul.py:41:21
	global_store_b16 v[18:19], v215, off
.LBB0_118:
	.loc	1 0 21 is_stmt 0                ; matmul.py:0:21
	s_or_b32 exec_lo, exec_lo, s9
	.loc	1 23 38 is_stmt 1               ; matmul.py:23:38
	v_or_b32_e32 v20, 34, v62
	s_delay_alu instid0(VALU_DEP_1) | instskip(SKIP_3) | instid1(VALU_DEP_1)
	.loc	1 39 64                         ; matmul.py:39:64
	v_mul_lo_u32 v18, s35, v20
	.loc	1 40 58                         ; matmul.py:40:58
	v_cmp_gt_i32_e64 s8, s39, v20
	.loc	1 40 39 is_stmt 0               ; matmul.py:40:39
	s_and_b32 s9, s8, s31
	.loc	1 39 52 is_stmt 1               ; matmul.py:39:52
	v_ashrrev_i32_e32 v19, 31, v18
	v_lshlrev_b64 v[18:19], 1, v[18:19]
	.loc	1 41 21                         ; matmul.py:41:21
	s_and_saveexec_b32 s10, s9
	s_cbranch_execz .LBB0_120
; %bb.119:
	.loc	1 0 21 is_stmt 0                ; matmul.py:0:21
	s_delay_alu instid0(VALU_DEP_1) | instskip(NEXT) | instid1(VALU_DEP_1)
	.loc	1 39 52 is_stmt 1               ; matmul.py:39:52
	v_add_co_u32 v20, s9, v98, v18
	v_add_co_ci_u32_e64 v21, null, v99, v19, s9
	.loc	1 41 21                         ; matmul.py:41:21
	global_store_b16 v[20:21], v214, off
.LBB0_120:
	.loc	1 0 21 is_stmt 0                ; matmul.py:0:21
	s_or_b32 exec_lo, exec_lo, s10
	.loc	1 23 38 is_stmt 1               ; matmul.py:23:38
	v_or_b32_e32 v22, 36, v62
	s_delay_alu instid0(VALU_DEP_1) | instskip(SKIP_3) | instid1(VALU_DEP_1)
	.loc	1 39 64                         ; matmul.py:39:64
	v_mul_lo_u32 v20, s35, v22
	.loc	1 40 58                         ; matmul.py:40:58
	v_cmp_gt_i32_e64 s9, s39, v22
	.loc	1 40 39 is_stmt 0               ; matmul.py:40:39
	s_and_b32 s10, s9, s31
	.loc	1 39 52 is_stmt 1               ; matmul.py:39:52
	v_ashrrev_i32_e32 v21, 31, v20
	v_lshlrev_b64 v[20:21], 1, v[20:21]
	.loc	1 41 21                         ; matmul.py:41:21
	s_and_saveexec_b32 s11, s10
	s_cbranch_execz .LBB0_122
; %bb.121:
	.loc	1 0 21 is_stmt 0                ; matmul.py:0:21
	s_delay_alu instid0(VALU_DEP_1) | instskip(NEXT) | instid1(VALU_DEP_1)
	.loc	1 39 52 is_stmt 1               ; matmul.py:39:52
	v_add_co_u32 v22, s10, v98, v20
	v_add_co_ci_u32_e64 v23, null, v99, v21, s10
	.loc	1 41 21                         ; matmul.py:41:21
	global_store_b16 v[22:23], v213, off
.LBB0_122:
	.loc	1 0 21 is_stmt 0                ; matmul.py:0:21
	s_or_b32 exec_lo, exec_lo, s11
	.loc	1 23 38 is_stmt 1               ; matmul.py:23:38
	v_or_b32_e32 v24, 38, v62
	s_delay_alu instid0(VALU_DEP_1) | instskip(SKIP_3) | instid1(VALU_DEP_1)
	.loc	1 39 64                         ; matmul.py:39:64
	v_mul_lo_u32 v22, s35, v24
	.loc	1 40 58                         ; matmul.py:40:58
	v_cmp_gt_i32_e64 s10, s39, v24
	.loc	1 40 39 is_stmt 0               ; matmul.py:40:39
	s_and_b32 s11, s10, s31
	.loc	1 39 52 is_stmt 1               ; matmul.py:39:52
	v_ashrrev_i32_e32 v23, 31, v22
	v_lshlrev_b64 v[22:23], 1, v[22:23]
	.loc	1 41 21                         ; matmul.py:41:21
	s_and_saveexec_b32 s12, s11
	s_cbranch_execz .LBB0_124
; %bb.123:
	.loc	1 0 21 is_stmt 0                ; matmul.py:0:21
	s_delay_alu instid0(VALU_DEP_1) | instskip(NEXT) | instid1(VALU_DEP_1)
	.loc	1 39 52 is_stmt 1               ; matmul.py:39:52
	v_add_co_u32 v24, s11, v98, v22
	v_add_co_ci_u32_e64 v25, null, v99, v23, s11
	.loc	1 41 21                         ; matmul.py:41:21
	global_store_b16 v[24:25], v212, off
.LBB0_124:
	.loc	1 0 21 is_stmt 0                ; matmul.py:0:21
	s_or_b32 exec_lo, exec_lo, s12
	.loc	1 23 38 is_stmt 1               ; matmul.py:23:38
	v_or_b32_e32 v26, 40, v62
	s_delay_alu instid0(VALU_DEP_1) | instskip(SKIP_3) | instid1(VALU_DEP_1)
	.loc	1 39 64                         ; matmul.py:39:64
	v_mul_lo_u32 v24, s35, v26
	.loc	1 40 58                         ; matmul.py:40:58
	v_cmp_gt_i32_e64 s11, s39, v26
	.loc	1 40 39 is_stmt 0               ; matmul.py:40:39
	s_and_b32 s12, s11, s31
	.loc	1 39 52 is_stmt 1               ; matmul.py:39:52
	v_ashrrev_i32_e32 v25, 31, v24
	v_lshlrev_b64 v[24:25], 1, v[24:25]
	.loc	1 41 21                         ; matmul.py:41:21
	s_and_saveexec_b32 s13, s12
	s_cbranch_execz .LBB0_126
; %bb.125:
	.loc	1 0 21 is_stmt 0                ; matmul.py:0:21
	s_delay_alu instid0(VALU_DEP_1) | instskip(NEXT) | instid1(VALU_DEP_1)
	.loc	1 39 52 is_stmt 1               ; matmul.py:39:52
	v_add_co_u32 v26, s12, v98, v24
	v_add_co_ci_u32_e64 v27, null, v99, v25, s12
	.loc	1 41 21                         ; matmul.py:41:21
	global_store_b16 v[26:27], v211, off
.LBB0_126:
	.loc	1 0 21 is_stmt 0                ; matmul.py:0:21
	s_or_b32 exec_lo, exec_lo, s13
	.loc	1 23 38 is_stmt 1               ; matmul.py:23:38
	v_or_b32_e32 v28, 42, v62
	s_delay_alu instid0(VALU_DEP_1) | instskip(SKIP_3) | instid1(VALU_DEP_1)
	.loc	1 39 64                         ; matmul.py:39:64
	v_mul_lo_u32 v26, s35, v28
	.loc	1 40 58                         ; matmul.py:40:58
	v_cmp_gt_i32_e64 s12, s39, v28
	.loc	1 40 39 is_stmt 0               ; matmul.py:40:39
	s_and_b32 s13, s12, s31
	.loc	1 39 52 is_stmt 1               ; matmul.py:39:52
	v_ashrrev_i32_e32 v27, 31, v26
	v_lshlrev_b64 v[26:27], 1, v[26:27]
	.loc	1 41 21                         ; matmul.py:41:21
	s_and_saveexec_b32 s14, s13
	s_cbranch_execz .LBB0_128
; %bb.127:
	.loc	1 0 21 is_stmt 0                ; matmul.py:0:21
	s_delay_alu instid0(VALU_DEP_1) | instskip(NEXT) | instid1(VALU_DEP_1)
	.loc	1 39 52 is_stmt 1               ; matmul.py:39:52
	v_add_co_u32 v28, s13, v98, v26
	v_add_co_ci_u32_e64 v29, null, v99, v27, s13
	.loc	1 41 21                         ; matmul.py:41:21
	global_store_b16 v[28:29], v210, off
.LBB0_128:
	.loc	1 0 21 is_stmt 0                ; matmul.py:0:21
	s_or_b32 exec_lo, exec_lo, s14
	.loc	1 23 38 is_stmt 1               ; matmul.py:23:38
	v_or_b32_e32 v30, 44, v62
	s_delay_alu instid0(VALU_DEP_1) | instskip(SKIP_3) | instid1(VALU_DEP_1)
	.loc	1 39 64                         ; matmul.py:39:64
	v_mul_lo_u32 v28, s35, v30
	.loc	1 40 58                         ; matmul.py:40:58
	v_cmp_gt_i32_e64 s13, s39, v30
	.loc	1 40 39 is_stmt 0               ; matmul.py:40:39
	s_and_b32 s14, s13, s31
	.loc	1 39 52 is_stmt 1               ; matmul.py:39:52
	v_ashrrev_i32_e32 v29, 31, v28
	v_lshlrev_b64 v[28:29], 1, v[28:29]
	.loc	1 41 21                         ; matmul.py:41:21
	s_and_saveexec_b32 s15, s14
	s_cbranch_execz .LBB0_130
; %bb.129:
	.loc	1 0 21 is_stmt 0                ; matmul.py:0:21
	s_delay_alu instid0(VALU_DEP_1) | instskip(NEXT) | instid1(VALU_DEP_1)
	.loc	1 39 52 is_stmt 1               ; matmul.py:39:52
	v_add_co_u32 v30, s14, v98, v28
	v_add_co_ci_u32_e64 v31, null, v99, v29, s14
	.loc	1 41 21                         ; matmul.py:41:21
	global_store_b16 v[30:31], v209, off
.LBB0_130:
	.loc	1 0 21 is_stmt 0                ; matmul.py:0:21
	s_or_b32 exec_lo, exec_lo, s15
	.loc	1 23 38 is_stmt 1               ; matmul.py:23:38
	v_or_b32_e32 v32, 46, v62
	s_delay_alu instid0(VALU_DEP_1) | instskip(SKIP_3) | instid1(VALU_DEP_1)
	.loc	1 39 64                         ; matmul.py:39:64
	v_mul_lo_u32 v30, s35, v32
	.loc	1 40 58                         ; matmul.py:40:58
	v_cmp_gt_i32_e64 s14, s39, v32
	.loc	1 40 39 is_stmt 0               ; matmul.py:40:39
	s_and_b32 s15, s14, s31
	.loc	1 39 52 is_stmt 1               ; matmul.py:39:52
	v_ashrrev_i32_e32 v31, 31, v30
	v_lshlrev_b64 v[30:31], 1, v[30:31]
	.loc	1 41 21                         ; matmul.py:41:21
	s_and_saveexec_b32 s16, s15
	s_cbranch_execz .LBB0_132
; %bb.131:
	.loc	1 0 21 is_stmt 0                ; matmul.py:0:21
	s_delay_alu instid0(VALU_DEP_1) | instskip(NEXT) | instid1(VALU_DEP_1)
	.loc	1 39 52 is_stmt 1               ; matmul.py:39:52
	v_add_co_u32 v32, s15, v98, v30
	v_add_co_ci_u32_e64 v33, null, v99, v31, s15
	.loc	1 41 21                         ; matmul.py:41:21
	global_store_b16 v[32:33], v208, off
.LBB0_132:
	.loc	1 0 21 is_stmt 0                ; matmul.py:0:21
	s_or_b32 exec_lo, exec_lo, s16
	.loc	1 23 38 is_stmt 1               ; matmul.py:23:38
	v_or_b32_e32 v34, 64, v62
	s_delay_alu instid0(VALU_DEP_1) | instskip(SKIP_3) | instid1(VALU_DEP_1)
	.loc	1 39 64                         ; matmul.py:39:64
	v_mul_lo_u32 v32, s35, v34
	.loc	1 40 58                         ; matmul.py:40:58
	v_cmp_gt_i32_e64 s15, s39, v34
	.loc	1 40 39 is_stmt 0               ; matmul.py:40:39
	s_and_b32 s16, s15, s31
	.loc	1 39 52 is_stmt 1               ; matmul.py:39:52
	v_ashrrev_i32_e32 v33, 31, v32
	v_lshlrev_b64 v[32:33], 1, v[32:33]
	.loc	1 41 21                         ; matmul.py:41:21
	s_and_saveexec_b32 s17, s16
	s_cbranch_execz .LBB0_134
; %bb.133:
	.loc	1 0 21 is_stmt 0                ; matmul.py:0:21
	s_delay_alu instid0(VALU_DEP_1) | instskip(NEXT) | instid1(VALU_DEP_1)
	.loc	1 39 52 is_stmt 1               ; matmul.py:39:52
	v_add_co_u32 v34, s16, v98, v32
	v_add_co_ci_u32_e64 v35, null, v99, v33, s16
	.loc	1 41 21                         ; matmul.py:41:21
	global_store_b16 v[34:35], v207, off
.LBB0_134:
	.loc	1 0 21 is_stmt 0                ; matmul.py:0:21
	s_or_b32 exec_lo, exec_lo, s17
	.loc	1 23 38 is_stmt 1               ; matmul.py:23:38
	v_or_b32_e32 v36, 0x42, v62
	s_delay_alu instid0(VALU_DEP_1) | instskip(SKIP_3) | instid1(VALU_DEP_1)
	.loc	1 39 64                         ; matmul.py:39:64
	v_mul_lo_u32 v34, s35, v36
	.loc	1 40 58                         ; matmul.py:40:58
	v_cmp_gt_i32_e64 s16, s39, v36
	.loc	1 40 39 is_stmt 0               ; matmul.py:40:39
	s_and_b32 s17, s16, s31
	.loc	1 39 52 is_stmt 1               ; matmul.py:39:52
	v_ashrrev_i32_e32 v35, 31, v34
	v_lshlrev_b64 v[34:35], 1, v[34:35]
	.loc	1 41 21                         ; matmul.py:41:21
	s_and_saveexec_b32 s18, s17
	s_cbranch_execz .LBB0_136
; %bb.135:
	.loc	1 0 21 is_stmt 0                ; matmul.py:0:21
	s_delay_alu instid0(VALU_DEP_1) | instskip(NEXT) | instid1(VALU_DEP_1)
	.loc	1 39 52 is_stmt 1               ; matmul.py:39:52
	v_add_co_u32 v36, s17, v98, v34
	v_add_co_ci_u32_e64 v37, null, v99, v35, s17
	.loc	1 41 21                         ; matmul.py:41:21
	global_store_b16 v[36:37], v206, off
.LBB0_136:
	.loc	1 0 21 is_stmt 0                ; matmul.py:0:21
	s_or_b32 exec_lo, exec_lo, s18
	.loc	1 23 38 is_stmt 1               ; matmul.py:23:38
	v_or_b32_e32 v38, 0x44, v62
	s_delay_alu instid0(VALU_DEP_1) | instskip(SKIP_3) | instid1(VALU_DEP_1)
	.loc	1 39 64                         ; matmul.py:39:64
	v_mul_lo_u32 v36, s35, v38
	.loc	1 40 58                         ; matmul.py:40:58
	v_cmp_gt_i32_e64 s17, s39, v38
	.loc	1 40 39 is_stmt 0               ; matmul.py:40:39
	s_and_b32 s18, s17, s31
	.loc	1 39 52 is_stmt 1               ; matmul.py:39:52
	v_ashrrev_i32_e32 v37, 31, v36
	v_lshlrev_b64 v[36:37], 1, v[36:37]
	.loc	1 41 21                         ; matmul.py:41:21
	s_and_saveexec_b32 s19, s18
	s_cbranch_execz .LBB0_138
; %bb.137:
	.loc	1 0 21 is_stmt 0                ; matmul.py:0:21
	s_delay_alu instid0(VALU_DEP_1) | instskip(NEXT) | instid1(VALU_DEP_1)
	.loc	1 39 52 is_stmt 1               ; matmul.py:39:52
	v_add_co_u32 v38, s18, v98, v36
	v_add_co_ci_u32_e64 v39, null, v99, v37, s18
	.loc	1 41 21                         ; matmul.py:41:21
	global_store_b16 v[38:39], v205, off
.LBB0_138:
	.loc	1 0 21 is_stmt 0                ; matmul.py:0:21
	s_or_b32 exec_lo, exec_lo, s19
	.loc	1 23 38 is_stmt 1               ; matmul.py:23:38
	v_or_b32_e32 v40, 0x46, v62
	s_delay_alu instid0(VALU_DEP_1) | instskip(SKIP_3) | instid1(VALU_DEP_1)
	.loc	1 39 64                         ; matmul.py:39:64
	v_mul_lo_u32 v38, s35, v40
	.loc	1 40 58                         ; matmul.py:40:58
	v_cmp_gt_i32_e64 s18, s39, v40
	.loc	1 40 39 is_stmt 0               ; matmul.py:40:39
	s_and_b32 s19, s18, s31
	.loc	1 39 52 is_stmt 1               ; matmul.py:39:52
	v_ashrrev_i32_e32 v39, 31, v38
	v_lshlrev_b64 v[38:39], 1, v[38:39]
	.loc	1 41 21                         ; matmul.py:41:21
	s_and_saveexec_b32 s20, s19
	s_cbranch_execz .LBB0_140
; %bb.139:
	.loc	1 0 21 is_stmt 0                ; matmul.py:0:21
	s_delay_alu instid0(VALU_DEP_1) | instskip(NEXT) | instid1(VALU_DEP_1)
	.loc	1 39 52 is_stmt 1               ; matmul.py:39:52
	v_add_co_u32 v40, s19, v98, v38
	v_add_co_ci_u32_e64 v41, null, v99, v39, s19
	.loc	1 41 21                         ; matmul.py:41:21
	global_store_b16 v[40:41], v204, off
.LBB0_140:
	.loc	1 0 21 is_stmt 0                ; matmul.py:0:21
	s_or_b32 exec_lo, exec_lo, s20
	.loc	1 23 38 is_stmt 1               ; matmul.py:23:38
	v_or_b32_e32 v42, 0x48, v62
	s_delay_alu instid0(VALU_DEP_1) | instskip(SKIP_3) | instid1(VALU_DEP_1)
	.loc	1 39 64                         ; matmul.py:39:64
	v_mul_lo_u32 v40, s35, v42
	.loc	1 40 58                         ; matmul.py:40:58
	v_cmp_gt_i32_e64 s19, s39, v42
	.loc	1 40 39 is_stmt 0               ; matmul.py:40:39
	s_and_b32 s20, s19, s31
	.loc	1 39 52 is_stmt 1               ; matmul.py:39:52
	v_ashrrev_i32_e32 v41, 31, v40
	v_lshlrev_b64 v[40:41], 1, v[40:41]
	.loc	1 41 21                         ; matmul.py:41:21
	s_and_saveexec_b32 s21, s20
	s_cbranch_execz .LBB0_142
; %bb.141:
	.loc	1 0 21 is_stmt 0                ; matmul.py:0:21
	s_delay_alu instid0(VALU_DEP_1) | instskip(NEXT) | instid1(VALU_DEP_1)
	.loc	1 39 52 is_stmt 1               ; matmul.py:39:52
	v_add_co_u32 v42, s20, v98, v40
	v_add_co_ci_u32_e64 v43, null, v99, v41, s20
	.loc	1 41 21                         ; matmul.py:41:21
	global_store_b16 v[42:43], v203, off
.LBB0_142:
	.loc	1 0 21 is_stmt 0                ; matmul.py:0:21
	s_or_b32 exec_lo, exec_lo, s21
	.loc	1 23 38 is_stmt 1               ; matmul.py:23:38
	v_or_b32_e32 v44, 0x4a, v62
	s_delay_alu instid0(VALU_DEP_1) | instskip(SKIP_3) | instid1(VALU_DEP_1)
	.loc	1 39 64                         ; matmul.py:39:64
	v_mul_lo_u32 v42, s35, v44
	.loc	1 40 58                         ; matmul.py:40:58
	v_cmp_gt_i32_e64 s20, s39, v44
	.loc	1 40 39 is_stmt 0               ; matmul.py:40:39
	s_and_b32 s21, s20, s31
	.loc	1 39 52 is_stmt 1               ; matmul.py:39:52
	v_ashrrev_i32_e32 v43, 31, v42
	v_lshlrev_b64 v[42:43], 1, v[42:43]
	.loc	1 41 21                         ; matmul.py:41:21
	s_and_saveexec_b32 s22, s21
	s_cbranch_execz .LBB0_144
; %bb.143:
	.loc	1 0 21 is_stmt 0                ; matmul.py:0:21
	s_delay_alu instid0(VALU_DEP_1) | instskip(NEXT) | instid1(VALU_DEP_1)
	.loc	1 39 52 is_stmt 1               ; matmul.py:39:52
	v_add_co_u32 v44, s21, v98, v42
	v_add_co_ci_u32_e64 v45, null, v99, v43, s21
	.loc	1 41 21                         ; matmul.py:41:21
	global_store_b16 v[44:45], v202, off
.LBB0_144:
	.loc	1 0 21 is_stmt 0                ; matmul.py:0:21
	s_or_b32 exec_lo, exec_lo, s22
	.loc	1 23 38 is_stmt 1               ; matmul.py:23:38
	v_or_b32_e32 v46, 0x4c, v62
	s_delay_alu instid0(VALU_DEP_1) | instskip(SKIP_3) | instid1(VALU_DEP_1)
	.loc	1 39 64                         ; matmul.py:39:64
	v_mul_lo_u32 v44, s35, v46
	.loc	1 40 58                         ; matmul.py:40:58
	v_cmp_gt_i32_e64 s21, s39, v46
	.loc	1 40 39 is_stmt 0               ; matmul.py:40:39
	s_and_b32 s22, s21, s31
	.loc	1 39 52 is_stmt 1               ; matmul.py:39:52
	v_ashrrev_i32_e32 v45, 31, v44
	v_lshlrev_b64 v[44:45], 1, v[44:45]
	.loc	1 41 21                         ; matmul.py:41:21
	s_and_saveexec_b32 s23, s22
	s_cbranch_execz .LBB0_146
; %bb.145:
	.loc	1 0 21 is_stmt 0                ; matmul.py:0:21
	s_delay_alu instid0(VALU_DEP_1) | instskip(NEXT) | instid1(VALU_DEP_1)
	.loc	1 39 52 is_stmt 1               ; matmul.py:39:52
	v_add_co_u32 v46, s22, v98, v44
	v_add_co_ci_u32_e64 v47, null, v99, v45, s22
	.loc	1 41 21                         ; matmul.py:41:21
	global_store_b16 v[46:47], v201, off
.LBB0_146:
	.loc	1 0 21 is_stmt 0                ; matmul.py:0:21
	s_or_b32 exec_lo, exec_lo, s23
	.loc	1 23 38 is_stmt 1               ; matmul.py:23:38
	v_or_b32_e32 v48, 0x4e, v62
	s_delay_alu instid0(VALU_DEP_1) | instskip(SKIP_3) | instid1(VALU_DEP_1)
	.loc	1 39 64                         ; matmul.py:39:64
	v_mul_lo_u32 v46, s35, v48
	.loc	1 40 58                         ; matmul.py:40:58
	v_cmp_gt_i32_e64 s22, s39, v48
	.loc	1 40 39 is_stmt 0               ; matmul.py:40:39
	s_and_b32 s23, s22, s31
	.loc	1 39 52 is_stmt 1               ; matmul.py:39:52
	v_ashrrev_i32_e32 v47, 31, v46
	v_lshlrev_b64 v[46:47], 1, v[46:47]
	.loc	1 41 21                         ; matmul.py:41:21
	s_and_saveexec_b32 s24, s23
	s_cbranch_execz .LBB0_148
; %bb.147:
	.loc	1 0 21 is_stmt 0                ; matmul.py:0:21
	s_delay_alu instid0(VALU_DEP_1) | instskip(NEXT) | instid1(VALU_DEP_1)
	.loc	1 39 52 is_stmt 1               ; matmul.py:39:52
	v_add_co_u32 v48, s23, v98, v46
	v_add_co_ci_u32_e64 v49, null, v99, v47, s23
	.loc	1 41 21                         ; matmul.py:41:21
	global_store_b16 v[48:49], v200, off
.LBB0_148:
	.loc	1 0 21 is_stmt 0                ; matmul.py:0:21
	s_or_b32 exec_lo, exec_lo, s24
	.loc	1 23 38 is_stmt 1               ; matmul.py:23:38
	v_or_b32_e32 v50, 0x60, v62
	s_delay_alu instid0(VALU_DEP_1) | instskip(SKIP_3) | instid1(VALU_DEP_1)
	.loc	1 39 64                         ; matmul.py:39:64
	v_mul_lo_u32 v48, s35, v50
	.loc	1 40 58                         ; matmul.py:40:58
	v_cmp_gt_i32_e64 s23, s39, v50
	.loc	1 40 39 is_stmt 0               ; matmul.py:40:39
	s_and_b32 s24, s23, s31
	.loc	1 39 52 is_stmt 1               ; matmul.py:39:52
	v_ashrrev_i32_e32 v49, 31, v48
	v_lshlrev_b64 v[48:49], 1, v[48:49]
	.loc	1 41 21                         ; matmul.py:41:21
	s_and_saveexec_b32 s25, s24
	s_cbranch_execz .LBB0_150
; %bb.149:
	.loc	1 0 21 is_stmt 0                ; matmul.py:0:21
	s_delay_alu instid0(VALU_DEP_1) | instskip(NEXT) | instid1(VALU_DEP_1)
	.loc	1 39 52 is_stmt 1               ; matmul.py:39:52
	v_add_co_u32 v50, s24, v98, v48
	v_add_co_ci_u32_e64 v51, null, v99, v49, s24
	.loc	1 41 21                         ; matmul.py:41:21
	global_store_b16 v[50:51], v199, off
.LBB0_150:
	.loc	1 0 21 is_stmt 0                ; matmul.py:0:21
	s_or_b32 exec_lo, exec_lo, s25
	.loc	1 23 38 is_stmt 1               ; matmul.py:23:38
	v_or_b32_e32 v52, 0x62, v62
	s_delay_alu instid0(VALU_DEP_1) | instskip(SKIP_3) | instid1(VALU_DEP_1)
	.loc	1 39 64                         ; matmul.py:39:64
	v_mul_lo_u32 v50, s35, v52
	.loc	1 40 58                         ; matmul.py:40:58
	v_cmp_gt_i32_e64 s24, s39, v52
	.loc	1 40 39 is_stmt 0               ; matmul.py:40:39
	s_and_b32 s25, s24, s31
	.loc	1 39 52 is_stmt 1               ; matmul.py:39:52
	v_ashrrev_i32_e32 v51, 31, v50
	v_lshlrev_b64 v[50:51], 1, v[50:51]
	.loc	1 41 21                         ; matmul.py:41:21
	s_and_saveexec_b32 s26, s25
	s_cbranch_execz .LBB0_152
; %bb.151:
	.loc	1 0 21 is_stmt 0                ; matmul.py:0:21
	s_delay_alu instid0(VALU_DEP_1) | instskip(NEXT) | instid1(VALU_DEP_1)
	.loc	1 39 52 is_stmt 1               ; matmul.py:39:52
	v_add_co_u32 v52, s25, v98, v50
	v_add_co_ci_u32_e64 v53, null, v99, v51, s25
	.loc	1 41 21                         ; matmul.py:41:21
	global_store_b16 v[52:53], v198, off
.LBB0_152:
	.loc	1 0 21 is_stmt 0                ; matmul.py:0:21
	s_or_b32 exec_lo, exec_lo, s26
	.loc	1 23 38 is_stmt 1               ; matmul.py:23:38
	v_or_b32_e32 v54, 0x64, v62
	s_delay_alu instid0(VALU_DEP_1) | instskip(SKIP_3) | instid1(VALU_DEP_1)
	.loc	1 39 64                         ; matmul.py:39:64
	v_mul_lo_u32 v52, s35, v54
	.loc	1 40 58                         ; matmul.py:40:58
	v_cmp_gt_i32_e64 s25, s39, v54
	.loc	1 40 39 is_stmt 0               ; matmul.py:40:39
	s_and_b32 s26, s25, s31
	.loc	1 39 52 is_stmt 1               ; matmul.py:39:52
	v_ashrrev_i32_e32 v53, 31, v52
	v_lshlrev_b64 v[52:53], 1, v[52:53]
	.loc	1 41 21                         ; matmul.py:41:21
	s_and_saveexec_b32 s27, s26
	s_cbranch_execz .LBB0_154
; %bb.153:
	.loc	1 0 21 is_stmt 0                ; matmul.py:0:21
	s_delay_alu instid0(VALU_DEP_1) | instskip(NEXT) | instid1(VALU_DEP_1)
	.loc	1 39 52 is_stmt 1               ; matmul.py:39:52
	v_add_co_u32 v54, s26, v98, v52
	v_add_co_ci_u32_e64 v55, null, v99, v53, s26
	.loc	1 41 21                         ; matmul.py:41:21
	global_store_b16 v[54:55], v197, off
.LBB0_154:
	.loc	1 0 21 is_stmt 0                ; matmul.py:0:21
	s_or_b32 exec_lo, exec_lo, s27
	.loc	1 23 38 is_stmt 1               ; matmul.py:23:38
	v_or_b32_e32 v56, 0x66, v62
	s_delay_alu instid0(VALU_DEP_1) | instskip(SKIP_3) | instid1(VALU_DEP_1)
	.loc	1 39 64                         ; matmul.py:39:64
	v_mul_lo_u32 v54, s35, v56
	.loc	1 40 58                         ; matmul.py:40:58
	v_cmp_gt_i32_e64 s26, s39, v56
	.loc	1 40 39 is_stmt 0               ; matmul.py:40:39
	s_and_b32 s27, s26, s31
	.loc	1 39 52 is_stmt 1               ; matmul.py:39:52
	v_ashrrev_i32_e32 v55, 31, v54
	v_lshlrev_b64 v[54:55], 1, v[54:55]
	.loc	1 41 21                         ; matmul.py:41:21
	s_and_saveexec_b32 s28, s27
	s_cbranch_execz .LBB0_156
; %bb.155:
	.loc	1 0 21 is_stmt 0                ; matmul.py:0:21
	s_delay_alu instid0(VALU_DEP_1) | instskip(NEXT) | instid1(VALU_DEP_1)
	.loc	1 39 52 is_stmt 1               ; matmul.py:39:52
	v_add_co_u32 v56, s27, v98, v54
	v_add_co_ci_u32_e64 v57, null, v99, v55, s27
	.loc	1 41 21                         ; matmul.py:41:21
	global_store_b16 v[56:57], v196, off
.LBB0_156:
	.loc	1 0 21 is_stmt 0                ; matmul.py:0:21
	s_or_b32 exec_lo, exec_lo, s28
	.loc	1 23 38 is_stmt 1               ; matmul.py:23:38
	v_or_b32_e32 v58, 0x68, v62
	s_delay_alu instid0(VALU_DEP_1) | instskip(SKIP_3) | instid1(VALU_DEP_1)
	.loc	1 39 64                         ; matmul.py:39:64
	v_mul_lo_u32 v56, s35, v58
	.loc	1 40 58                         ; matmul.py:40:58
	v_cmp_gt_i32_e64 s27, s39, v58
	.loc	1 40 39 is_stmt 0               ; matmul.py:40:39
	s_and_b32 s28, s27, s31
	.loc	1 39 52 is_stmt 1               ; matmul.py:39:52
	v_ashrrev_i32_e32 v57, 31, v56
	v_lshlrev_b64 v[56:57], 1, v[56:57]
	.loc	1 41 21                         ; matmul.py:41:21
	s_and_saveexec_b32 s29, s28
	s_cbranch_execz .LBB0_158
; %bb.157:
	.loc	1 0 21 is_stmt 0                ; matmul.py:0:21
	s_delay_alu instid0(VALU_DEP_1) | instskip(NEXT) | instid1(VALU_DEP_1)
	.loc	1 39 52 is_stmt 1               ; matmul.py:39:52
	v_add_co_u32 v58, s28, v98, v56
	v_add_co_ci_u32_e64 v59, null, v99, v57, s28
	.loc	1 41 21                         ; matmul.py:41:21
	global_store_b16 v[58:59], v195, off
.LBB0_158:
	.loc	1 0 21 is_stmt 0                ; matmul.py:0:21
	s_or_b32 exec_lo, exec_lo, s29
	.loc	1 23 38 is_stmt 1               ; matmul.py:23:38
	v_or_b32_e32 v60, 0x6a, v62
	s_delay_alu instid0(VALU_DEP_1) | instskip(SKIP_3) | instid1(VALU_DEP_1)
	.loc	1 39 64                         ; matmul.py:39:64
	v_mul_lo_u32 v58, s35, v60
	.loc	1 40 58                         ; matmul.py:40:58
	v_cmp_gt_i32_e64 s28, s39, v60
	.loc	1 40 39 is_stmt 0               ; matmul.py:40:39
	s_and_b32 s29, s28, s31
	.loc	1 39 52 is_stmt 1               ; matmul.py:39:52
	v_ashrrev_i32_e32 v59, 31, v58
	v_lshlrev_b64 v[58:59], 1, v[58:59]
	.loc	1 41 21                         ; matmul.py:41:21
	s_and_saveexec_b32 s30, s29
	s_cbranch_execz .LBB0_160
; %bb.159:
	.loc	1 0 21 is_stmt 0                ; matmul.py:0:21
	s_delay_alu instid0(VALU_DEP_1) | instskip(NEXT) | instid1(VALU_DEP_1)
	.loc	1 39 52 is_stmt 1               ; matmul.py:39:52
	v_add_co_u32 v60, s29, v98, v58
	v_add_co_ci_u32_e64 v61, null, v99, v59, s29
	.loc	1 41 21                         ; matmul.py:41:21
	global_store_b16 v[60:61], v194, off
.LBB0_160:
	.loc	1 0 21 is_stmt 0                ; matmul.py:0:21
	s_or_b32 exec_lo, exec_lo, s30
	.loc	1 23 38 is_stmt 1               ; matmul.py:23:38
	v_or_b32_e32 v63, 0x6c, v62
	s_delay_alu instid0(VALU_DEP_1) | instskip(SKIP_3) | instid1(VALU_DEP_1)
	.loc	1 39 64                         ; matmul.py:39:64
	v_mul_lo_u32 v60, s35, v63
	.loc	1 40 58                         ; matmul.py:40:58
	v_cmp_gt_i32_e64 s29, s39, v63
	.loc	1 40 39 is_stmt 0               ; matmul.py:40:39
	s_and_b32 s30, s29, s31
	.loc	1 39 52 is_stmt 1               ; matmul.py:39:52
	v_ashrrev_i32_e32 v61, 31, v60
	v_lshlrev_b64 v[60:61], 1, v[60:61]
	.loc	1 41 21                         ; matmul.py:41:21
	s_and_saveexec_b32 s33, s30
	s_cbranch_execz .LBB0_162
; %bb.161:
	.loc	1 0 21 is_stmt 0                ; matmul.py:0:21
	s_delay_alu instid0(VALU_DEP_1) | instskip(NEXT) | instid1(VALU_DEP_1)
	.loc	1 39 52 is_stmt 1               ; matmul.py:39:52
	v_add_co_u32 v100, s30, v98, v60
	v_add_co_ci_u32_e64 v101, null, v99, v61, s30
	.loc	1 41 21                         ; matmul.py:41:21
	global_store_b16 v[100:101], v193, off
.LBB0_162:
	.loc	1 0 21 is_stmt 0                ; matmul.py:0:21
	s_or_b32 exec_lo, exec_lo, s33
	.loc	1 23 38 is_stmt 1               ; matmul.py:23:38
	v_or_b32_e32 v100, 0x6e, v62
	s_delay_alu instid0(VALU_DEP_1) | instskip(SKIP_3) | instid1(VALU_DEP_1)
	.loc	1 39 64                         ; matmul.py:39:64
	v_mul_lo_u32 v62, s35, v100
	.loc	1 40 58                         ; matmul.py:40:58
	v_cmp_gt_i32_e64 s30, s39, v100
	.loc	1 40 39 is_stmt 0               ; matmul.py:40:39
	s_and_b32 s31, s30, s31
	.loc	1 39 52 is_stmt 1               ; matmul.py:39:52
	v_ashrrev_i32_e32 v63, 31, v62
	v_lshlrev_b64 v[62:63], 1, v[62:63]
	.loc	1 41 21                         ; matmul.py:41:21
	s_and_saveexec_b32 s33, s31
	s_cbranch_execz .LBB0_164
; %bb.163:
	.loc	1 0 21 is_stmt 0                ; matmul.py:0:21
	s_delay_alu instid0(VALU_DEP_1) | instskip(NEXT) | instid1(VALU_DEP_1)
	.loc	1 39 52 is_stmt 1               ; matmul.py:39:52
	v_add_co_u32 v98, s31, v98, v62
	v_add_co_ci_u32_e64 v99, null, v99, v63, s31
	.loc	1 41 21                         ; matmul.py:41:21
	global_store_b16 v[98:99], v192, off
.LBB0_164:
	.loc	1 0 21 is_stmt 0                ; matmul.py:0:21
	s_or_b32 exec_lo, exec_lo, s33
	.loc	1 22 38 is_stmt 1               ; matmul.py:22:38
	v_or_b32_e32 v100, 64, v97
	s_delay_alu instid0(VALU_DEP_1) | instskip(SKIP_1) | instid1(VALU_DEP_2)
	.loc	1 39 33                         ; matmul.py:39:33
	v_mul_lo_u32 v98, s34, v100
	.loc	1 40 33                         ; matmul.py:40:33
	v_cmp_gt_i32_e64 s31, s38, v100
	.loc	1 39 21                         ; matmul.py:39:21
	v_ashrrev_i32_e32 v99, 31, v98
	s_delay_alu instid0(VALU_DEP_1) | instskip(NEXT) | instid1(VALU_DEP_1)
	v_lshlrev_b64 v[98:99], 1, v[98:99]
	v_add_co_u32 v98, s33, s36, v98
	s_delay_alu instid0(VALU_DEP_1) | instskip(SKIP_1) | instid1(SALU_CYCLE_1)
	v_add_co_ci_u32_e64 v99, null, s37, v99, s33
	.loc	1 40 39                         ; matmul.py:40:39
	s_and_b32 s33, s31, vcc_lo
	.loc	1 41 21                         ; matmul.py:41:21
	s_and_saveexec_b32 s35, s33
	s_cbranch_execnz .LBB0_263
; %bb.165:
	.loc	1 0 21 is_stmt 0                ; matmul.py:0:21
	s_or_b32 exec_lo, exec_lo, s35
	.loc	1 40 39 is_stmt 1               ; matmul.py:40:39
	s_and_b32 s33, s31, s0
	s_delay_alu instid0(SALU_CYCLE_1)
	.loc	1 41 21                         ; matmul.py:41:21
	s_and_saveexec_b32 s35, s33
	s_cbranch_execnz .LBB0_264
.LBB0_166:
	.loc	1 0 21 is_stmt 0                ; matmul.py:0:21
	s_or_b32 exec_lo, exec_lo, s35
	.loc	1 40 39 is_stmt 1               ; matmul.py:40:39
	s_and_b32 s33, s31, s1
	s_delay_alu instid0(SALU_CYCLE_1)
	.loc	1 41 21                         ; matmul.py:41:21
	s_and_saveexec_b32 s35, s33
	s_cbranch_execnz .LBB0_265
.LBB0_167:
	.loc	1 0 21 is_stmt 0                ; matmul.py:0:21
	s_or_b32 exec_lo, exec_lo, s35
	.loc	1 40 39 is_stmt 1               ; matmul.py:40:39
	s_and_b32 s33, s31, s2
	s_delay_alu instid0(SALU_CYCLE_1)
	.loc	1 41 21                         ; matmul.py:41:21
	s_and_saveexec_b32 s35, s33
	s_cbranch_execnz .LBB0_266
.LBB0_168:
	.loc	1 0 21 is_stmt 0                ; matmul.py:0:21
	s_or_b32 exec_lo, exec_lo, s35
	.loc	1 40 39 is_stmt 1               ; matmul.py:40:39
	s_and_b32 s33, s31, s3
	s_delay_alu instid0(SALU_CYCLE_1)
	.loc	1 41 21                         ; matmul.py:41:21
	s_and_saveexec_b32 s35, s33
	s_cbranch_execnz .LBB0_267
.LBB0_169:
	.loc	1 0 21 is_stmt 0                ; matmul.py:0:21
	s_or_b32 exec_lo, exec_lo, s35
	.loc	1 40 39 is_stmt 1               ; matmul.py:40:39
	s_and_b32 s33, s31, s4
	s_delay_alu instid0(SALU_CYCLE_1)
	.loc	1 41 21                         ; matmul.py:41:21
	s_and_saveexec_b32 s35, s33
	s_cbranch_execnz .LBB0_268
.LBB0_170:
	.loc	1 0 21 is_stmt 0                ; matmul.py:0:21
	s_or_b32 exec_lo, exec_lo, s35
	.loc	1 40 39 is_stmt 1               ; matmul.py:40:39
	s_and_b32 s33, s31, s5
	s_delay_alu instid0(SALU_CYCLE_1)
	.loc	1 41 21                         ; matmul.py:41:21
	s_and_saveexec_b32 s35, s33
	s_cbranch_execnz .LBB0_269
.LBB0_171:
	.loc	1 0 21 is_stmt 0                ; matmul.py:0:21
	s_or_b32 exec_lo, exec_lo, s35
	.loc	1 40 39 is_stmt 1               ; matmul.py:40:39
	s_and_b32 s33, s31, s6
	s_delay_alu instid0(SALU_CYCLE_1)
	.loc	1 41 21                         ; matmul.py:41:21
	s_and_saveexec_b32 s35, s33
	s_cbranch_execnz .LBB0_270
.LBB0_172:
	.loc	1 0 21 is_stmt 0                ; matmul.py:0:21
	s_or_b32 exec_lo, exec_lo, s35
	.loc	1 40 39 is_stmt 1               ; matmul.py:40:39
	s_and_b32 s33, s31, s7
	s_delay_alu instid0(SALU_CYCLE_1)
	.loc	1 41 21                         ; matmul.py:41:21
	s_and_saveexec_b32 s35, s33
	s_cbranch_execnz .LBB0_271
.LBB0_173:
	.loc	1 0 21 is_stmt 0                ; matmul.py:0:21
	s_or_b32 exec_lo, exec_lo, s35
	.loc	1 40 39 is_stmt 1               ; matmul.py:40:39
	s_and_b32 s33, s31, s8
	s_delay_alu instid0(SALU_CYCLE_1)
	.loc	1 41 21                         ; matmul.py:41:21
	s_and_saveexec_b32 s35, s33
	s_cbranch_execnz .LBB0_272
.LBB0_174:
	.loc	1 0 21 is_stmt 0                ; matmul.py:0:21
	s_or_b32 exec_lo, exec_lo, s35
	.loc	1 40 39 is_stmt 1               ; matmul.py:40:39
	s_and_b32 s33, s31, s9
	s_delay_alu instid0(SALU_CYCLE_1)
	.loc	1 41 21                         ; matmul.py:41:21
	s_and_saveexec_b32 s35, s33
	s_cbranch_execnz .LBB0_273
.LBB0_175:
	.loc	1 0 21 is_stmt 0                ; matmul.py:0:21
	s_or_b32 exec_lo, exec_lo, s35
	.loc	1 40 39 is_stmt 1               ; matmul.py:40:39
	s_and_b32 s33, s31, s10
	s_delay_alu instid0(SALU_CYCLE_1)
	.loc	1 41 21                         ; matmul.py:41:21
	s_and_saveexec_b32 s35, s33
	s_cbranch_execnz .LBB0_274
.LBB0_176:
	.loc	1 0 21 is_stmt 0                ; matmul.py:0:21
	s_or_b32 exec_lo, exec_lo, s35
	.loc	1 40 39 is_stmt 1               ; matmul.py:40:39
	s_and_b32 s33, s31, s11
	s_delay_alu instid0(SALU_CYCLE_1)
	.loc	1 41 21                         ; matmul.py:41:21
	s_and_saveexec_b32 s35, s33
	s_cbranch_execnz .LBB0_275
.LBB0_177:
	.loc	1 0 21 is_stmt 0                ; matmul.py:0:21
	s_or_b32 exec_lo, exec_lo, s35
	.loc	1 40 39 is_stmt 1               ; matmul.py:40:39
	s_and_b32 s33, s31, s12
	s_delay_alu instid0(SALU_CYCLE_1)
	.loc	1 41 21                         ; matmul.py:41:21
	s_and_saveexec_b32 s35, s33
	s_cbranch_execnz .LBB0_276
.LBB0_178:
	.loc	1 0 21 is_stmt 0                ; matmul.py:0:21
	s_or_b32 exec_lo, exec_lo, s35
	.loc	1 40 39 is_stmt 1               ; matmul.py:40:39
	s_and_b32 s33, s31, s13
	s_delay_alu instid0(SALU_CYCLE_1)
	.loc	1 41 21                         ; matmul.py:41:21
	s_and_saveexec_b32 s35, s33
	s_cbranch_execnz .LBB0_277
.LBB0_179:
	.loc	1 0 21 is_stmt 0                ; matmul.py:0:21
	s_or_b32 exec_lo, exec_lo, s35
	.loc	1 40 39 is_stmt 1               ; matmul.py:40:39
	s_and_b32 s33, s31, s14
	s_delay_alu instid0(SALU_CYCLE_1)
	.loc	1 41 21                         ; matmul.py:41:21
	s_and_saveexec_b32 s35, s33
	s_cbranch_execnz .LBB0_278
.LBB0_180:
	.loc	1 0 21 is_stmt 0                ; matmul.py:0:21
	s_or_b32 exec_lo, exec_lo, s35
	.loc	1 40 39 is_stmt 1               ; matmul.py:40:39
	s_and_b32 s33, s31, s15
	s_delay_alu instid0(SALU_CYCLE_1)
	.loc	1 41 21                         ; matmul.py:41:21
	s_and_saveexec_b32 s35, s33
	s_cbranch_execnz .LBB0_279
.LBB0_181:
	.loc	1 0 21 is_stmt 0                ; matmul.py:0:21
	s_or_b32 exec_lo, exec_lo, s35
	.loc	1 40 39 is_stmt 1               ; matmul.py:40:39
	s_and_b32 s33, s31, s16
	s_delay_alu instid0(SALU_CYCLE_1)
	.loc	1 41 21                         ; matmul.py:41:21
	s_and_saveexec_b32 s35, s33
	s_cbranch_execnz .LBB0_280
.LBB0_182:
	.loc	1 0 21 is_stmt 0                ; matmul.py:0:21
	s_or_b32 exec_lo, exec_lo, s35
	.loc	1 40 39 is_stmt 1               ; matmul.py:40:39
	s_and_b32 s33, s31, s17
	s_delay_alu instid0(SALU_CYCLE_1)
	.loc	1 41 21                         ; matmul.py:41:21
	s_and_saveexec_b32 s35, s33
	s_cbranch_execnz .LBB0_281
.LBB0_183:
	.loc	1 0 21 is_stmt 0                ; matmul.py:0:21
	s_or_b32 exec_lo, exec_lo, s35
	.loc	1 40 39 is_stmt 1               ; matmul.py:40:39
	s_and_b32 s33, s31, s18
	s_delay_alu instid0(SALU_CYCLE_1)
	.loc	1 41 21                         ; matmul.py:41:21
	s_and_saveexec_b32 s35, s33
	s_cbranch_execnz .LBB0_282
.LBB0_184:
	.loc	1 0 21 is_stmt 0                ; matmul.py:0:21
	s_or_b32 exec_lo, exec_lo, s35
	.loc	1 40 39 is_stmt 1               ; matmul.py:40:39
	s_and_b32 s33, s31, s19
	s_delay_alu instid0(SALU_CYCLE_1)
	.loc	1 41 21                         ; matmul.py:41:21
	s_and_saveexec_b32 s35, s33
	s_cbranch_execnz .LBB0_283
.LBB0_185:
	.loc	1 0 21 is_stmt 0                ; matmul.py:0:21
	s_or_b32 exec_lo, exec_lo, s35
	.loc	1 40 39 is_stmt 1               ; matmul.py:40:39
	s_and_b32 s33, s31, s20
	s_delay_alu instid0(SALU_CYCLE_1)
	.loc	1 41 21                         ; matmul.py:41:21
	s_and_saveexec_b32 s35, s33
	s_cbranch_execnz .LBB0_284
.LBB0_186:
	.loc	1 0 21 is_stmt 0                ; matmul.py:0:21
	s_or_b32 exec_lo, exec_lo, s35
	.loc	1 40 39 is_stmt 1               ; matmul.py:40:39
	s_and_b32 s33, s31, s21
	s_delay_alu instid0(SALU_CYCLE_1)
	.loc	1 41 21                         ; matmul.py:41:21
	s_and_saveexec_b32 s35, s33
	s_cbranch_execnz .LBB0_285
.LBB0_187:
	.loc	1 0 21 is_stmt 0                ; matmul.py:0:21
	s_or_b32 exec_lo, exec_lo, s35
	.loc	1 40 39 is_stmt 1               ; matmul.py:40:39
	s_and_b32 s33, s31, s22
	s_delay_alu instid0(SALU_CYCLE_1)
	.loc	1 41 21                         ; matmul.py:41:21
	s_and_saveexec_b32 s35, s33
	s_cbranch_execnz .LBB0_286
.LBB0_188:
	.loc	1 0 21 is_stmt 0                ; matmul.py:0:21
	s_or_b32 exec_lo, exec_lo, s35
	.loc	1 40 39 is_stmt 1               ; matmul.py:40:39
	s_and_b32 s33, s31, s23
	s_delay_alu instid0(SALU_CYCLE_1)
	.loc	1 41 21                         ; matmul.py:41:21
	s_and_saveexec_b32 s35, s33
	s_cbranch_execnz .LBB0_287
.LBB0_189:
	.loc	1 0 21 is_stmt 0                ; matmul.py:0:21
	s_or_b32 exec_lo, exec_lo, s35
	.loc	1 40 39 is_stmt 1               ; matmul.py:40:39
	s_and_b32 s33, s31, s24
	s_delay_alu instid0(SALU_CYCLE_1)
	.loc	1 41 21                         ; matmul.py:41:21
	s_and_saveexec_b32 s35, s33
	s_cbranch_execnz .LBB0_288
.LBB0_190:
	.loc	1 0 21 is_stmt 0                ; matmul.py:0:21
	s_or_b32 exec_lo, exec_lo, s35
	.loc	1 40 39 is_stmt 1               ; matmul.py:40:39
	s_and_b32 s33, s31, s25
	s_delay_alu instid0(SALU_CYCLE_1)
	.loc	1 41 21                         ; matmul.py:41:21
	s_and_saveexec_b32 s35, s33
	s_cbranch_execnz .LBB0_289
.LBB0_191:
	.loc	1 0 21 is_stmt 0                ; matmul.py:0:21
	s_or_b32 exec_lo, exec_lo, s35
	.loc	1 40 39 is_stmt 1               ; matmul.py:40:39
	s_and_b32 s33, s31, s26
	s_delay_alu instid0(SALU_CYCLE_1)
	.loc	1 41 21                         ; matmul.py:41:21
	s_and_saveexec_b32 s35, s33
	s_cbranch_execnz .LBB0_290
.LBB0_192:
	.loc	1 0 21 is_stmt 0                ; matmul.py:0:21
	s_or_b32 exec_lo, exec_lo, s35
	.loc	1 40 39 is_stmt 1               ; matmul.py:40:39
	s_and_b32 s33, s31, s27
	s_delay_alu instid0(SALU_CYCLE_1)
	.loc	1 41 21                         ; matmul.py:41:21
	s_and_saveexec_b32 s35, s33
	s_cbranch_execnz .LBB0_291
.LBB0_193:
	.loc	1 0 21 is_stmt 0                ; matmul.py:0:21
	s_or_b32 exec_lo, exec_lo, s35
	.loc	1 40 39 is_stmt 1               ; matmul.py:40:39
	s_and_b32 s33, s31, s28
	s_delay_alu instid0(SALU_CYCLE_1)
	.loc	1 41 21                         ; matmul.py:41:21
	s_and_saveexec_b32 s35, s33
	s_cbranch_execnz .LBB0_292
.LBB0_194:
	.loc	1 0 21 is_stmt 0                ; matmul.py:0:21
	s_or_b32 exec_lo, exec_lo, s35
	.loc	1 40 39 is_stmt 1               ; matmul.py:40:39
	s_and_b32 s33, s31, s29
	s_delay_alu instid0(SALU_CYCLE_1)
	.loc	1 41 21                         ; matmul.py:41:21
	s_and_saveexec_b32 s35, s33
	s_cbranch_execnz .LBB0_293
.LBB0_195:
	.loc	1 0 21 is_stmt 0                ; matmul.py:0:21
	s_or_b32 exec_lo, exec_lo, s35
	.loc	1 40 39 is_stmt 1               ; matmul.py:40:39
	s_and_b32 s31, s31, s30
	s_delay_alu instid0(SALU_CYCLE_1)
	.loc	1 41 21                         ; matmul.py:41:21
	s_and_saveexec_b32 s33, s31
	s_cbranch_execz .LBB0_197
.LBB0_196:
	.loc	1 39 52                         ; matmul.py:39:52
	v_add_co_u32 v98, s31, v98, v62
	s_delay_alu instid0(VALU_DEP_1)
	v_add_co_ci_u32_e64 v99, null, v99, v63, s31
	.loc	1 41 21                         ; matmul.py:41:21
	global_store_b16 v[98:99], v160, off
.LBB0_197:
	.loc	1 0 21 is_stmt 0                ; matmul.py:0:21
	s_or_b32 exec_lo, exec_lo, s33
	.loc	1 22 38 is_stmt 1               ; matmul.py:22:38
	v_or_b32_e32 v100, 0x80, v97
	s_delay_alu instid0(VALU_DEP_1) | instskip(SKIP_1) | instid1(VALU_DEP_2)
	.loc	1 39 33                         ; matmul.py:39:33
	v_mul_lo_u32 v98, s34, v100
	.loc	1 40 33                         ; matmul.py:40:33
	v_cmp_gt_i32_e64 s31, s38, v100
	.loc	1 39 21                         ; matmul.py:39:21
	v_ashrrev_i32_e32 v99, 31, v98
	s_delay_alu instid0(VALU_DEP_1) | instskip(NEXT) | instid1(VALU_DEP_1)
	v_lshlrev_b64 v[98:99], 1, v[98:99]
	v_add_co_u32 v98, s33, s36, v98
	s_delay_alu instid0(VALU_DEP_1) | instskip(SKIP_1) | instid1(SALU_CYCLE_1)
	v_add_co_ci_u32_e64 v99, null, s37, v99, s33
	.loc	1 40 39                         ; matmul.py:40:39
	s_and_b32 s33, s31, vcc_lo
	.loc	1 41 21                         ; matmul.py:41:21
	s_and_saveexec_b32 s35, s33
	s_cbranch_execnz .LBB0_294
; %bb.198:
	.loc	1 0 21 is_stmt 0                ; matmul.py:0:21
	s_or_b32 exec_lo, exec_lo, s35
	.loc	1 40 39 is_stmt 1               ; matmul.py:40:39
	s_and_b32 s33, s31, s0
	s_delay_alu instid0(SALU_CYCLE_1)
	.loc	1 41 21                         ; matmul.py:41:21
	s_and_saveexec_b32 s35, s33
	s_cbranch_execnz .LBB0_295
.LBB0_199:
	.loc	1 0 21 is_stmt 0                ; matmul.py:0:21
	s_or_b32 exec_lo, exec_lo, s35
	.loc	1 40 39 is_stmt 1               ; matmul.py:40:39
	s_and_b32 s33, s31, s1
	s_delay_alu instid0(SALU_CYCLE_1)
	.loc	1 41 21                         ; matmul.py:41:21
	s_and_saveexec_b32 s35, s33
	s_cbranch_execnz .LBB0_296
.LBB0_200:
	.loc	1 0 21 is_stmt 0                ; matmul.py:0:21
	s_or_b32 exec_lo, exec_lo, s35
	.loc	1 40 39 is_stmt 1               ; matmul.py:40:39
	s_and_b32 s33, s31, s2
	s_delay_alu instid0(SALU_CYCLE_1)
	.loc	1 41 21                         ; matmul.py:41:21
	s_and_saveexec_b32 s35, s33
	s_cbranch_execnz .LBB0_297
.LBB0_201:
	.loc	1 0 21 is_stmt 0                ; matmul.py:0:21
	s_or_b32 exec_lo, exec_lo, s35
	.loc	1 40 39 is_stmt 1               ; matmul.py:40:39
	s_and_b32 s33, s31, s3
	s_delay_alu instid0(SALU_CYCLE_1)
	.loc	1 41 21                         ; matmul.py:41:21
	s_and_saveexec_b32 s35, s33
	s_cbranch_execnz .LBB0_298
.LBB0_202:
	.loc	1 0 21 is_stmt 0                ; matmul.py:0:21
	s_or_b32 exec_lo, exec_lo, s35
	.loc	1 40 39 is_stmt 1               ; matmul.py:40:39
	s_and_b32 s33, s31, s4
	s_delay_alu instid0(SALU_CYCLE_1)
	.loc	1 41 21                         ; matmul.py:41:21
	s_and_saveexec_b32 s35, s33
	s_cbranch_execnz .LBB0_299
.LBB0_203:
	.loc	1 0 21 is_stmt 0                ; matmul.py:0:21
	s_or_b32 exec_lo, exec_lo, s35
	.loc	1 40 39 is_stmt 1               ; matmul.py:40:39
	s_and_b32 s33, s31, s5
	s_delay_alu instid0(SALU_CYCLE_1)
	.loc	1 41 21                         ; matmul.py:41:21
	s_and_saveexec_b32 s35, s33
	s_cbranch_execnz .LBB0_300
.LBB0_204:
	.loc	1 0 21 is_stmt 0                ; matmul.py:0:21
	s_or_b32 exec_lo, exec_lo, s35
	.loc	1 40 39 is_stmt 1               ; matmul.py:40:39
	s_and_b32 s33, s31, s6
	s_delay_alu instid0(SALU_CYCLE_1)
	.loc	1 41 21                         ; matmul.py:41:21
	s_and_saveexec_b32 s35, s33
	s_cbranch_execnz .LBB0_301
.LBB0_205:
	.loc	1 0 21 is_stmt 0                ; matmul.py:0:21
	s_or_b32 exec_lo, exec_lo, s35
	.loc	1 40 39 is_stmt 1               ; matmul.py:40:39
	s_and_b32 s33, s31, s7
	s_delay_alu instid0(SALU_CYCLE_1)
	.loc	1 41 21                         ; matmul.py:41:21
	s_and_saveexec_b32 s35, s33
	s_cbranch_execnz .LBB0_302
.LBB0_206:
	.loc	1 0 21 is_stmt 0                ; matmul.py:0:21
	s_or_b32 exec_lo, exec_lo, s35
	.loc	1 40 39 is_stmt 1               ; matmul.py:40:39
	s_and_b32 s33, s31, s8
	s_delay_alu instid0(SALU_CYCLE_1)
	.loc	1 41 21                         ; matmul.py:41:21
	s_and_saveexec_b32 s35, s33
	s_cbranch_execnz .LBB0_303
.LBB0_207:
	.loc	1 0 21 is_stmt 0                ; matmul.py:0:21
	s_or_b32 exec_lo, exec_lo, s35
	.loc	1 40 39 is_stmt 1               ; matmul.py:40:39
	s_and_b32 s33, s31, s9
	s_delay_alu instid0(SALU_CYCLE_1)
	.loc	1 41 21                         ; matmul.py:41:21
	s_and_saveexec_b32 s35, s33
	s_cbranch_execnz .LBB0_304
.LBB0_208:
	.loc	1 0 21 is_stmt 0                ; matmul.py:0:21
	s_or_b32 exec_lo, exec_lo, s35
	.loc	1 40 39 is_stmt 1               ; matmul.py:40:39
	s_and_b32 s33, s31, s10
	s_delay_alu instid0(SALU_CYCLE_1)
	.loc	1 41 21                         ; matmul.py:41:21
	s_and_saveexec_b32 s35, s33
	s_cbranch_execnz .LBB0_305
.LBB0_209:
	.loc	1 0 21 is_stmt 0                ; matmul.py:0:21
	s_or_b32 exec_lo, exec_lo, s35
	.loc	1 40 39 is_stmt 1               ; matmul.py:40:39
	s_and_b32 s33, s31, s11
	s_delay_alu instid0(SALU_CYCLE_1)
	.loc	1 41 21                         ; matmul.py:41:21
	s_and_saveexec_b32 s35, s33
	s_cbranch_execnz .LBB0_306
.LBB0_210:
	.loc	1 0 21 is_stmt 0                ; matmul.py:0:21
	s_or_b32 exec_lo, exec_lo, s35
	.loc	1 40 39 is_stmt 1               ; matmul.py:40:39
	s_and_b32 s33, s31, s12
	s_delay_alu instid0(SALU_CYCLE_1)
	.loc	1 41 21                         ; matmul.py:41:21
	s_and_saveexec_b32 s35, s33
	s_cbranch_execnz .LBB0_307
.LBB0_211:
	.loc	1 0 21 is_stmt 0                ; matmul.py:0:21
	s_or_b32 exec_lo, exec_lo, s35
	.loc	1 40 39 is_stmt 1               ; matmul.py:40:39
	s_and_b32 s33, s31, s13
	s_delay_alu instid0(SALU_CYCLE_1)
	.loc	1 41 21                         ; matmul.py:41:21
	s_and_saveexec_b32 s35, s33
	s_cbranch_execnz .LBB0_308
.LBB0_212:
	.loc	1 0 21 is_stmt 0                ; matmul.py:0:21
	s_or_b32 exec_lo, exec_lo, s35
	.loc	1 40 39 is_stmt 1               ; matmul.py:40:39
	s_and_b32 s33, s31, s14
	s_delay_alu instid0(SALU_CYCLE_1)
	.loc	1 41 21                         ; matmul.py:41:21
	s_and_saveexec_b32 s35, s33
	s_cbranch_execnz .LBB0_309
.LBB0_213:
	.loc	1 0 21 is_stmt 0                ; matmul.py:0:21
	s_or_b32 exec_lo, exec_lo, s35
	.loc	1 40 39 is_stmt 1               ; matmul.py:40:39
	s_and_b32 s33, s31, s15
	s_delay_alu instid0(SALU_CYCLE_1)
	.loc	1 41 21                         ; matmul.py:41:21
	s_and_saveexec_b32 s35, s33
	s_cbranch_execnz .LBB0_310
.LBB0_214:
	.loc	1 0 21 is_stmt 0                ; matmul.py:0:21
	s_or_b32 exec_lo, exec_lo, s35
	.loc	1 40 39 is_stmt 1               ; matmul.py:40:39
	s_and_b32 s33, s31, s16
	s_delay_alu instid0(SALU_CYCLE_1)
	.loc	1 41 21                         ; matmul.py:41:21
	s_and_saveexec_b32 s35, s33
	s_cbranch_execnz .LBB0_311
.LBB0_215:
	.loc	1 0 21 is_stmt 0                ; matmul.py:0:21
	s_or_b32 exec_lo, exec_lo, s35
	.loc	1 40 39 is_stmt 1               ; matmul.py:40:39
	s_and_b32 s33, s31, s17
	s_delay_alu instid0(SALU_CYCLE_1)
	.loc	1 41 21                         ; matmul.py:41:21
	s_and_saveexec_b32 s35, s33
	s_cbranch_execnz .LBB0_312
.LBB0_216:
	.loc	1 0 21 is_stmt 0                ; matmul.py:0:21
	s_or_b32 exec_lo, exec_lo, s35
	.loc	1 40 39 is_stmt 1               ; matmul.py:40:39
	s_and_b32 s33, s31, s18
	s_delay_alu instid0(SALU_CYCLE_1)
	.loc	1 41 21                         ; matmul.py:41:21
	s_and_saveexec_b32 s35, s33
	s_cbranch_execnz .LBB0_313
.LBB0_217:
	.loc	1 0 21 is_stmt 0                ; matmul.py:0:21
	s_or_b32 exec_lo, exec_lo, s35
	.loc	1 40 39 is_stmt 1               ; matmul.py:40:39
	s_and_b32 s33, s31, s19
	s_delay_alu instid0(SALU_CYCLE_1)
	.loc	1 41 21                         ; matmul.py:41:21
	s_and_saveexec_b32 s35, s33
	s_cbranch_execnz .LBB0_314
.LBB0_218:
	.loc	1 0 21 is_stmt 0                ; matmul.py:0:21
	s_or_b32 exec_lo, exec_lo, s35
	.loc	1 40 39 is_stmt 1               ; matmul.py:40:39
	s_and_b32 s33, s31, s20
	s_delay_alu instid0(SALU_CYCLE_1)
	.loc	1 41 21                         ; matmul.py:41:21
	s_and_saveexec_b32 s35, s33
	s_cbranch_execnz .LBB0_315
.LBB0_219:
	.loc	1 0 21 is_stmt 0                ; matmul.py:0:21
	s_or_b32 exec_lo, exec_lo, s35
	.loc	1 40 39 is_stmt 1               ; matmul.py:40:39
	s_and_b32 s33, s31, s21
	s_delay_alu instid0(SALU_CYCLE_1)
	.loc	1 41 21                         ; matmul.py:41:21
	s_and_saveexec_b32 s35, s33
	s_cbranch_execnz .LBB0_316
.LBB0_220:
	.loc	1 0 21 is_stmt 0                ; matmul.py:0:21
	s_or_b32 exec_lo, exec_lo, s35
	.loc	1 40 39 is_stmt 1               ; matmul.py:40:39
	s_and_b32 s33, s31, s22
	s_delay_alu instid0(SALU_CYCLE_1)
	.loc	1 41 21                         ; matmul.py:41:21
	s_and_saveexec_b32 s35, s33
	s_cbranch_execnz .LBB0_317
.LBB0_221:
	.loc	1 0 21 is_stmt 0                ; matmul.py:0:21
	s_or_b32 exec_lo, exec_lo, s35
	.loc	1 40 39 is_stmt 1               ; matmul.py:40:39
	s_and_b32 s33, s31, s23
	s_delay_alu instid0(SALU_CYCLE_1)
	.loc	1 41 21                         ; matmul.py:41:21
	s_and_saveexec_b32 s35, s33
	s_cbranch_execnz .LBB0_318
.LBB0_222:
	.loc	1 0 21 is_stmt 0                ; matmul.py:0:21
	s_or_b32 exec_lo, exec_lo, s35
	.loc	1 40 39 is_stmt 1               ; matmul.py:40:39
	s_and_b32 s33, s31, s24
	s_delay_alu instid0(SALU_CYCLE_1)
	.loc	1 41 21                         ; matmul.py:41:21
	s_and_saveexec_b32 s35, s33
	s_cbranch_execnz .LBB0_319
.LBB0_223:
	.loc	1 0 21 is_stmt 0                ; matmul.py:0:21
	s_or_b32 exec_lo, exec_lo, s35
	.loc	1 40 39 is_stmt 1               ; matmul.py:40:39
	s_and_b32 s33, s31, s25
	s_delay_alu instid0(SALU_CYCLE_1)
	.loc	1 41 21                         ; matmul.py:41:21
	s_and_saveexec_b32 s35, s33
	s_cbranch_execnz .LBB0_320
.LBB0_224:
	.loc	1 0 21 is_stmt 0                ; matmul.py:0:21
	s_or_b32 exec_lo, exec_lo, s35
	.loc	1 40 39 is_stmt 1               ; matmul.py:40:39
	s_and_b32 s33, s31, s26
	s_delay_alu instid0(SALU_CYCLE_1)
	.loc	1 41 21                         ; matmul.py:41:21
	s_and_saveexec_b32 s35, s33
	s_cbranch_execnz .LBB0_321
.LBB0_225:
	.loc	1 0 21 is_stmt 0                ; matmul.py:0:21
	s_or_b32 exec_lo, exec_lo, s35
	.loc	1 40 39 is_stmt 1               ; matmul.py:40:39
	s_and_b32 s33, s31, s27
	s_delay_alu instid0(SALU_CYCLE_1)
	.loc	1 41 21                         ; matmul.py:41:21
	s_and_saveexec_b32 s35, s33
	s_cbranch_execnz .LBB0_322
.LBB0_226:
	.loc	1 0 21 is_stmt 0                ; matmul.py:0:21
	s_or_b32 exec_lo, exec_lo, s35
	.loc	1 40 39 is_stmt 1               ; matmul.py:40:39
	s_and_b32 s33, s31, s28
	s_delay_alu instid0(SALU_CYCLE_1)
	.loc	1 41 21                         ; matmul.py:41:21
	s_and_saveexec_b32 s35, s33
	s_cbranch_execnz .LBB0_323
.LBB0_227:
	.loc	1 0 21 is_stmt 0                ; matmul.py:0:21
	s_or_b32 exec_lo, exec_lo, s35
	.loc	1 40 39 is_stmt 1               ; matmul.py:40:39
	s_and_b32 s33, s31, s29
	s_delay_alu instid0(SALU_CYCLE_1)
	.loc	1 41 21                         ; matmul.py:41:21
	s_and_saveexec_b32 s35, s33
	s_cbranch_execnz .LBB0_324
.LBB0_228:
	.loc	1 0 21 is_stmt 0                ; matmul.py:0:21
	s_or_b32 exec_lo, exec_lo, s35
	.loc	1 40 39 is_stmt 1               ; matmul.py:40:39
	s_and_b32 s31, s31, s30
	s_delay_alu instid0(SALU_CYCLE_1)
	.loc	1 41 21                         ; matmul.py:41:21
	s_and_saveexec_b32 s33, s31
	s_cbranch_execz .LBB0_230
.LBB0_229:
	.loc	1 39 52                         ; matmul.py:39:52
	v_add_co_u32 v98, s31, v98, v62
	s_delay_alu instid0(VALU_DEP_1)
	v_add_co_ci_u32_e64 v99, null, v99, v63, s31
	.loc	1 41 21                         ; matmul.py:41:21
	global_store_b16 v[98:99], v96, off
.LBB0_230:
	.loc	1 0 21 is_stmt 0                ; matmul.py:0:21
	s_or_b32 exec_lo, exec_lo, s33
	.loc	1 22 38 is_stmt 1               ; matmul.py:22:38
	v_or_b32_e32 v98, 0xc0, v97
	s_delay_alu instid0(VALU_DEP_1) | instskip(SKIP_3) | instid1(VALU_DEP_1)
	.loc	1 39 33                         ; matmul.py:39:33
	v_mul_lo_u32 v96, s34, v98
	.loc	1 40 33                         ; matmul.py:40:33
	v_cmp_gt_i32_e64 s31, s38, v98
	.loc	1 40 39 is_stmt 0               ; matmul.py:40:39
	s_and_b32 s34, s31, vcc_lo
	.loc	1 39 21 is_stmt 1               ; matmul.py:39:21
	v_ashrrev_i32_e32 v97, 31, v96
	v_lshlrev_b64 v[96:97], 1, v[96:97]
	s_delay_alu instid0(VALU_DEP_1) | instskip(NEXT) | instid1(VALU_DEP_1)
	v_add_co_u32 v96, s33, s36, v96
	v_add_co_ci_u32_e64 v97, null, s37, v97, s33
	.loc	1 41 21                         ; matmul.py:41:21
	s_and_saveexec_b32 s33, s34
	s_cbranch_execnz .LBB0_325
; %bb.231:
	.loc	1 0 21 is_stmt 0                ; matmul.py:0:21
	s_or_b32 exec_lo, exec_lo, s33
	.loc	1 40 39 is_stmt 1               ; matmul.py:40:39
	s_and_b32 s33, s31, s0
	s_delay_alu instid0(SALU_CYCLE_1)
	.loc	1 41 21                         ; matmul.py:41:21
	s_and_saveexec_b32 s0, s33
	s_cbranch_execnz .LBB0_326
.LBB0_232:
	.loc	1 0 21 is_stmt 0                ; matmul.py:0:21
	s_or_b32 exec_lo, exec_lo, s0
	.loc	1 40 39 is_stmt 1               ; matmul.py:40:39
	s_and_b32 s1, s31, s1
	s_delay_alu instid0(SALU_CYCLE_1)
	.loc	1 41 21                         ; matmul.py:41:21
	s_and_saveexec_b32 s0, s1
	s_cbranch_execnz .LBB0_327
.LBB0_233:
	.loc	1 0 21 is_stmt 0                ; matmul.py:0:21
	s_or_b32 exec_lo, exec_lo, s0
	.loc	1 40 39 is_stmt 1               ; matmul.py:40:39
	s_and_b32 s1, s31, s2
	s_delay_alu instid0(SALU_CYCLE_1)
	.loc	1 41 21                         ; matmul.py:41:21
	s_and_saveexec_b32 s0, s1
	s_cbranch_execnz .LBB0_328
.LBB0_234:
	.loc	1 0 21 is_stmt 0                ; matmul.py:0:21
	s_or_b32 exec_lo, exec_lo, s0
	.loc	1 40 39 is_stmt 1               ; matmul.py:40:39
	s_and_b32 s1, s31, s3
	s_delay_alu instid0(SALU_CYCLE_1)
	.loc	1 41 21                         ; matmul.py:41:21
	s_and_saveexec_b32 s0, s1
	s_cbranch_execnz .LBB0_329
.LBB0_235:
	.loc	1 0 21 is_stmt 0                ; matmul.py:0:21
	s_or_b32 exec_lo, exec_lo, s0
	.loc	1 40 39 is_stmt 1               ; matmul.py:40:39
	s_and_b32 s1, s31, s4
	s_delay_alu instid0(SALU_CYCLE_1)
	.loc	1 41 21                         ; matmul.py:41:21
	s_and_saveexec_b32 s0, s1
	s_cbranch_execnz .LBB0_330
.LBB0_236:
	.loc	1 0 21 is_stmt 0                ; matmul.py:0:21
	s_or_b32 exec_lo, exec_lo, s0
	.loc	1 40 39 is_stmt 1               ; matmul.py:40:39
	s_and_b32 s1, s31, s5
	s_delay_alu instid0(SALU_CYCLE_1)
	.loc	1 41 21                         ; matmul.py:41:21
	s_and_saveexec_b32 s0, s1
	s_cbranch_execnz .LBB0_331
.LBB0_237:
	.loc	1 0 21 is_stmt 0                ; matmul.py:0:21
	s_or_b32 exec_lo, exec_lo, s0
	.loc	1 40 39 is_stmt 1               ; matmul.py:40:39
	s_and_b32 s1, s31, s6
	s_delay_alu instid0(SALU_CYCLE_1)
	.loc	1 41 21                         ; matmul.py:41:21
	s_and_saveexec_b32 s0, s1
	s_cbranch_execnz .LBB0_332
.LBB0_238:
	.loc	1 0 21 is_stmt 0                ; matmul.py:0:21
	s_or_b32 exec_lo, exec_lo, s0
	.loc	1 40 39 is_stmt 1               ; matmul.py:40:39
	s_and_b32 s1, s31, s7
	s_delay_alu instid0(SALU_CYCLE_1)
	.loc	1 41 21                         ; matmul.py:41:21
	s_and_saveexec_b32 s0, s1
	s_cbranch_execnz .LBB0_333
.LBB0_239:
	.loc	1 0 21 is_stmt 0                ; matmul.py:0:21
	s_or_b32 exec_lo, exec_lo, s0
	.loc	1 40 39 is_stmt 1               ; matmul.py:40:39
	s_and_b32 s1, s31, s8
	s_delay_alu instid0(SALU_CYCLE_1)
	.loc	1 41 21                         ; matmul.py:41:21
	s_and_saveexec_b32 s0, s1
	s_cbranch_execnz .LBB0_334
.LBB0_240:
	.loc	1 0 21 is_stmt 0                ; matmul.py:0:21
	s_or_b32 exec_lo, exec_lo, s0
	.loc	1 40 39 is_stmt 1               ; matmul.py:40:39
	s_and_b32 s1, s31, s9
	s_delay_alu instid0(SALU_CYCLE_1)
	.loc	1 41 21                         ; matmul.py:41:21
	s_and_saveexec_b32 s0, s1
	s_cbranch_execnz .LBB0_335
.LBB0_241:
	.loc	1 0 21 is_stmt 0                ; matmul.py:0:21
	s_or_b32 exec_lo, exec_lo, s0
	.loc	1 40 39 is_stmt 1               ; matmul.py:40:39
	s_and_b32 s1, s31, s10
	s_delay_alu instid0(SALU_CYCLE_1)
	.loc	1 41 21                         ; matmul.py:41:21
	s_and_saveexec_b32 s0, s1
	s_cbranch_execnz .LBB0_336
.LBB0_242:
	.loc	1 0 21 is_stmt 0                ; matmul.py:0:21
	s_or_b32 exec_lo, exec_lo, s0
	.loc	1 40 39 is_stmt 1               ; matmul.py:40:39
	s_and_b32 s1, s31, s11
	s_delay_alu instid0(SALU_CYCLE_1)
	.loc	1 41 21                         ; matmul.py:41:21
	s_and_saveexec_b32 s0, s1
	s_cbranch_execnz .LBB0_337
.LBB0_243:
	.loc	1 0 21 is_stmt 0                ; matmul.py:0:21
	s_or_b32 exec_lo, exec_lo, s0
	.loc	1 40 39 is_stmt 1               ; matmul.py:40:39
	s_and_b32 s1, s31, s12
	s_delay_alu instid0(SALU_CYCLE_1)
	.loc	1 41 21                         ; matmul.py:41:21
	s_and_saveexec_b32 s0, s1
	s_cbranch_execnz .LBB0_338
.LBB0_244:
	.loc	1 0 21 is_stmt 0                ; matmul.py:0:21
	s_or_b32 exec_lo, exec_lo, s0
	.loc	1 40 39 is_stmt 1               ; matmul.py:40:39
	s_and_b32 s1, s31, s13
	s_delay_alu instid0(SALU_CYCLE_1)
	.loc	1 41 21                         ; matmul.py:41:21
	s_and_saveexec_b32 s0, s1
	s_cbranch_execnz .LBB0_339
.LBB0_245:
	.loc	1 0 21 is_stmt 0                ; matmul.py:0:21
	s_or_b32 exec_lo, exec_lo, s0
	.loc	1 40 39 is_stmt 1               ; matmul.py:40:39
	s_and_b32 s1, s31, s14
	s_delay_alu instid0(SALU_CYCLE_1)
	.loc	1 41 21                         ; matmul.py:41:21
	s_and_saveexec_b32 s0, s1
	s_cbranch_execnz .LBB0_340
.LBB0_246:
	.loc	1 0 21 is_stmt 0                ; matmul.py:0:21
	s_or_b32 exec_lo, exec_lo, s0
	.loc	1 40 39 is_stmt 1               ; matmul.py:40:39
	s_and_b32 s1, s31, s15
	s_delay_alu instid0(SALU_CYCLE_1)
	.loc	1 41 21                         ; matmul.py:41:21
	s_and_saveexec_b32 s0, s1
	s_cbranch_execnz .LBB0_341
.LBB0_247:
	.loc	1 0 21 is_stmt 0                ; matmul.py:0:21
	s_or_b32 exec_lo, exec_lo, s0
	.loc	1 40 39 is_stmt 1               ; matmul.py:40:39
	s_and_b32 s1, s31, s16
	s_delay_alu instid0(SALU_CYCLE_1)
	.loc	1 41 21                         ; matmul.py:41:21
	s_and_saveexec_b32 s0, s1
	s_cbranch_execnz .LBB0_342
.LBB0_248:
	.loc	1 0 21 is_stmt 0                ; matmul.py:0:21
	s_or_b32 exec_lo, exec_lo, s0
	.loc	1 40 39 is_stmt 1               ; matmul.py:40:39
	s_and_b32 s1, s31, s17
	s_delay_alu instid0(SALU_CYCLE_1)
	.loc	1 41 21                         ; matmul.py:41:21
	s_and_saveexec_b32 s0, s1
	s_cbranch_execnz .LBB0_343
.LBB0_249:
	.loc	1 0 21 is_stmt 0                ; matmul.py:0:21
	s_or_b32 exec_lo, exec_lo, s0
	.loc	1 40 39 is_stmt 1               ; matmul.py:40:39
	s_and_b32 s1, s31, s18
	s_delay_alu instid0(SALU_CYCLE_1)
	.loc	1 41 21                         ; matmul.py:41:21
	s_and_saveexec_b32 s0, s1
	s_cbranch_execnz .LBB0_344
.LBB0_250:
	.loc	1 0 21 is_stmt 0                ; matmul.py:0:21
	s_or_b32 exec_lo, exec_lo, s0
	.loc	1 40 39 is_stmt 1               ; matmul.py:40:39
	s_and_b32 s1, s31, s19
	s_delay_alu instid0(SALU_CYCLE_1)
	.loc	1 41 21                         ; matmul.py:41:21
	s_and_saveexec_b32 s0, s1
	s_cbranch_execnz .LBB0_345
.LBB0_251:
	.loc	1 0 21 is_stmt 0                ; matmul.py:0:21
	s_or_b32 exec_lo, exec_lo, s0
	.loc	1 40 39 is_stmt 1               ; matmul.py:40:39
	s_and_b32 s1, s31, s20
	s_delay_alu instid0(SALU_CYCLE_1)
	.loc	1 41 21                         ; matmul.py:41:21
	s_and_saveexec_b32 s0, s1
	s_cbranch_execnz .LBB0_346
.LBB0_252:
	.loc	1 0 21 is_stmt 0                ; matmul.py:0:21
	s_or_b32 exec_lo, exec_lo, s0
	.loc	1 40 39 is_stmt 1               ; matmul.py:40:39
	s_and_b32 s1, s31, s21
	s_delay_alu instid0(SALU_CYCLE_1)
	.loc	1 41 21                         ; matmul.py:41:21
	s_and_saveexec_b32 s0, s1
	s_cbranch_execnz .LBB0_347
.LBB0_253:
	.loc	1 0 21 is_stmt 0                ; matmul.py:0:21
	s_or_b32 exec_lo, exec_lo, s0
	.loc	1 40 39 is_stmt 1               ; matmul.py:40:39
	s_and_b32 s1, s31, s22
	s_delay_alu instid0(SALU_CYCLE_1)
	.loc	1 41 21                         ; matmul.py:41:21
	s_and_saveexec_b32 s0, s1
	s_cbranch_execnz .LBB0_348
.LBB0_254:
	.loc	1 0 21 is_stmt 0                ; matmul.py:0:21
	s_or_b32 exec_lo, exec_lo, s0
	.loc	1 40 39 is_stmt 1               ; matmul.py:40:39
	s_and_b32 s1, s31, s23
	s_delay_alu instid0(SALU_CYCLE_1)
	.loc	1 41 21                         ; matmul.py:41:21
	s_and_saveexec_b32 s0, s1
	s_cbranch_execnz .LBB0_349
.LBB0_255:
	.loc	1 0 21 is_stmt 0                ; matmul.py:0:21
	s_or_b32 exec_lo, exec_lo, s0
	.loc	1 40 39 is_stmt 1               ; matmul.py:40:39
	s_and_b32 s1, s31, s24
	s_delay_alu instid0(SALU_CYCLE_1)
	.loc	1 41 21                         ; matmul.py:41:21
	s_and_saveexec_b32 s0, s1
	s_cbranch_execnz .LBB0_350
.LBB0_256:
	.loc	1 0 21 is_stmt 0                ; matmul.py:0:21
	s_or_b32 exec_lo, exec_lo, s0
	.loc	1 40 39 is_stmt 1               ; matmul.py:40:39
	s_and_b32 s1, s31, s25
	s_delay_alu instid0(SALU_CYCLE_1)
	.loc	1 41 21                         ; matmul.py:41:21
	s_and_saveexec_b32 s0, s1
	s_cbranch_execnz .LBB0_351
.LBB0_257:
	.loc	1 0 21 is_stmt 0                ; matmul.py:0:21
	s_or_b32 exec_lo, exec_lo, s0
	.loc	1 40 39 is_stmt 1               ; matmul.py:40:39
	s_and_b32 s1, s31, s26
	s_delay_alu instid0(SALU_CYCLE_1)
	.loc	1 41 21                         ; matmul.py:41:21
	s_and_saveexec_b32 s0, s1
	s_cbranch_execnz .LBB0_352
.LBB0_258:
	.loc	1 0 21 is_stmt 0                ; matmul.py:0:21
	s_or_b32 exec_lo, exec_lo, s0
	.loc	1 40 39 is_stmt 1               ; matmul.py:40:39
	s_and_b32 s1, s31, s27
	s_delay_alu instid0(SALU_CYCLE_1)
	.loc	1 41 21                         ; matmul.py:41:21
	s_and_saveexec_b32 s0, s1
	s_cbranch_execnz .LBB0_353
.LBB0_259:
	.loc	1 0 21 is_stmt 0                ; matmul.py:0:21
	s_or_b32 exec_lo, exec_lo, s0
	.loc	1 40 39 is_stmt 1               ; matmul.py:40:39
	s_and_b32 s1, s31, s28
	s_delay_alu instid0(SALU_CYCLE_1)
	.loc	1 41 21                         ; matmul.py:41:21
	s_and_saveexec_b32 s0, s1
	s_cbranch_execnz .LBB0_354
.LBB0_260:
	.loc	1 0 21 is_stmt 0                ; matmul.py:0:21
	s_or_b32 exec_lo, exec_lo, s0
	.loc	1 40 39 is_stmt 1               ; matmul.py:40:39
	s_and_b32 s1, s31, s29
	s_delay_alu instid0(SALU_CYCLE_1)
	.loc	1 41 21                         ; matmul.py:41:21
	s_and_saveexec_b32 s0, s1
	s_cbranch_execnz .LBB0_355
.LBB0_261:
	.loc	1 0 21 is_stmt 0                ; matmul.py:0:21
	s_or_b32 exec_lo, exec_lo, s0
	.loc	1 40 39 is_stmt 1               ; matmul.py:40:39
	s_and_b32 s0, s31, s30
	s_delay_alu instid0(SALU_CYCLE_1)
	.loc	1 41 21                         ; matmul.py:41:21
	s_and_saveexec_b32 s1, s0
	s_cbranch_execnz .LBB0_356
.LBB0_262:
	.loc	1 41 4 is_stmt 0                ; matmul.py:41:4
	s_endpgm
.LBB0_263:
	.loc	1 39 52 is_stmt 1               ; matmul.py:39:52
	v_add_co_u32 v100, s33, v98, v0
	s_delay_alu instid0(VALU_DEP_1) | instskip(SKIP_3) | instid1(SALU_CYCLE_1)
	v_add_co_ci_u32_e64 v101, null, v99, v1, s33
	.loc	1 41 21                         ; matmul.py:41:21
	global_store_b16 v[100:101], v191, off
	s_or_b32 exec_lo, exec_lo, s35
	.loc	1 40 39                         ; matmul.py:40:39
	s_and_b32 s33, s31, s0
	.loc	1 41 21                         ; matmul.py:41:21
	s_and_saveexec_b32 s35, s33
	s_cbranch_execz .LBB0_166
.LBB0_264:
	.loc	1 39 52                         ; matmul.py:39:52
	v_add_co_u32 v100, s33, v98, v2
	s_delay_alu instid0(VALU_DEP_1) | instskip(SKIP_3) | instid1(SALU_CYCLE_1)
	v_add_co_ci_u32_e64 v101, null, v99, v3, s33
	.loc	1 41 21                         ; matmul.py:41:21
	global_store_b16 v[100:101], v190, off
	s_or_b32 exec_lo, exec_lo, s35
	.loc	1 40 39                         ; matmul.py:40:39
	s_and_b32 s33, s31, s1
	.loc	1 41 21                         ; matmul.py:41:21
	s_and_saveexec_b32 s35, s33
	s_cbranch_execz .LBB0_167
.LBB0_265:
	.loc	1 39 52                         ; matmul.py:39:52
	v_add_co_u32 v100, s33, v98, v4
	s_delay_alu instid0(VALU_DEP_1) | instskip(SKIP_3) | instid1(SALU_CYCLE_1)
	v_add_co_ci_u32_e64 v101, null, v99, v5, s33
	.loc	1 41 21                         ; matmul.py:41:21
	global_store_b16 v[100:101], v189, off
	s_or_b32 exec_lo, exec_lo, s35
	.loc	1 40 39                         ; matmul.py:40:39
	s_and_b32 s33, s31, s2
	.loc	1 41 21                         ; matmul.py:41:21
	s_and_saveexec_b32 s35, s33
	s_cbranch_execz .LBB0_168
.LBB0_266:
	.loc	1 39 52                         ; matmul.py:39:52
	v_add_co_u32 v100, s33, v98, v6
	s_delay_alu instid0(VALU_DEP_1) | instskip(SKIP_3) | instid1(SALU_CYCLE_1)
	v_add_co_ci_u32_e64 v101, null, v99, v7, s33
	.loc	1 41 21                         ; matmul.py:41:21
	global_store_b16 v[100:101], v188, off
	s_or_b32 exec_lo, exec_lo, s35
	.loc	1 40 39                         ; matmul.py:40:39
	s_and_b32 s33, s31, s3
	.loc	1 41 21                         ; matmul.py:41:21
	s_and_saveexec_b32 s35, s33
	s_cbranch_execz .LBB0_169
.LBB0_267:
	.loc	1 39 52                         ; matmul.py:39:52
	v_add_co_u32 v100, s33, v98, v8
	s_delay_alu instid0(VALU_DEP_1) | instskip(SKIP_3) | instid1(SALU_CYCLE_1)
	v_add_co_ci_u32_e64 v101, null, v99, v9, s33
	.loc	1 41 21                         ; matmul.py:41:21
	global_store_b16 v[100:101], v187, off
	s_or_b32 exec_lo, exec_lo, s35
	.loc	1 40 39                         ; matmul.py:40:39
	s_and_b32 s33, s31, s4
	.loc	1 41 21                         ; matmul.py:41:21
	s_and_saveexec_b32 s35, s33
	s_cbranch_execz .LBB0_170
.LBB0_268:
	.loc	1 39 52                         ; matmul.py:39:52
	v_add_co_u32 v100, s33, v98, v10
	s_delay_alu instid0(VALU_DEP_1) | instskip(SKIP_3) | instid1(SALU_CYCLE_1)
	v_add_co_ci_u32_e64 v101, null, v99, v11, s33
	.loc	1 41 21                         ; matmul.py:41:21
	global_store_b16 v[100:101], v186, off
	s_or_b32 exec_lo, exec_lo, s35
	.loc	1 40 39                         ; matmul.py:40:39
	s_and_b32 s33, s31, s5
	.loc	1 41 21                         ; matmul.py:41:21
	s_and_saveexec_b32 s35, s33
	s_cbranch_execz .LBB0_171
.LBB0_269:
	.loc	1 39 52                         ; matmul.py:39:52
	v_add_co_u32 v100, s33, v98, v12
	s_delay_alu instid0(VALU_DEP_1) | instskip(SKIP_3) | instid1(SALU_CYCLE_1)
	v_add_co_ci_u32_e64 v101, null, v99, v13, s33
	.loc	1 41 21                         ; matmul.py:41:21
	global_store_b16 v[100:101], v185, off
	s_or_b32 exec_lo, exec_lo, s35
	.loc	1 40 39                         ; matmul.py:40:39
	s_and_b32 s33, s31, s6
	.loc	1 41 21                         ; matmul.py:41:21
	s_and_saveexec_b32 s35, s33
	s_cbranch_execz .LBB0_172
.LBB0_270:
	.loc	1 39 52                         ; matmul.py:39:52
	v_add_co_u32 v100, s33, v98, v14
	s_delay_alu instid0(VALU_DEP_1) | instskip(SKIP_3) | instid1(SALU_CYCLE_1)
	v_add_co_ci_u32_e64 v101, null, v99, v15, s33
	.loc	1 41 21                         ; matmul.py:41:21
	global_store_b16 v[100:101], v184, off
	s_or_b32 exec_lo, exec_lo, s35
	.loc	1 40 39                         ; matmul.py:40:39
	s_and_b32 s33, s31, s7
	.loc	1 41 21                         ; matmul.py:41:21
	s_and_saveexec_b32 s35, s33
	s_cbranch_execz .LBB0_173
.LBB0_271:
	.loc	1 39 52                         ; matmul.py:39:52
	v_add_co_u32 v100, s33, v98, v16
	s_delay_alu instid0(VALU_DEP_1) | instskip(SKIP_3) | instid1(SALU_CYCLE_1)
	v_add_co_ci_u32_e64 v101, null, v99, v17, s33
	.loc	1 41 21                         ; matmul.py:41:21
	global_store_b16 v[100:101], v183, off
	s_or_b32 exec_lo, exec_lo, s35
	.loc	1 40 39                         ; matmul.py:40:39
	s_and_b32 s33, s31, s8
	.loc	1 41 21                         ; matmul.py:41:21
	s_and_saveexec_b32 s35, s33
	s_cbranch_execz .LBB0_174
.LBB0_272:
	.loc	1 39 52                         ; matmul.py:39:52
	v_add_co_u32 v100, s33, v98, v18
	s_delay_alu instid0(VALU_DEP_1) | instskip(SKIP_3) | instid1(SALU_CYCLE_1)
	v_add_co_ci_u32_e64 v101, null, v99, v19, s33
	.loc	1 41 21                         ; matmul.py:41:21
	global_store_b16 v[100:101], v182, off
	s_or_b32 exec_lo, exec_lo, s35
	.loc	1 40 39                         ; matmul.py:40:39
	s_and_b32 s33, s31, s9
	.loc	1 41 21                         ; matmul.py:41:21
	s_and_saveexec_b32 s35, s33
	s_cbranch_execz .LBB0_175
.LBB0_273:
	.loc	1 39 52                         ; matmul.py:39:52
	v_add_co_u32 v100, s33, v98, v20
	s_delay_alu instid0(VALU_DEP_1) | instskip(SKIP_3) | instid1(SALU_CYCLE_1)
	v_add_co_ci_u32_e64 v101, null, v99, v21, s33
	.loc	1 41 21                         ; matmul.py:41:21
	global_store_b16 v[100:101], v181, off
	s_or_b32 exec_lo, exec_lo, s35
	.loc	1 40 39                         ; matmul.py:40:39
	s_and_b32 s33, s31, s10
	.loc	1 41 21                         ; matmul.py:41:21
	s_and_saveexec_b32 s35, s33
	s_cbranch_execz .LBB0_176
.LBB0_274:
	.loc	1 39 52                         ; matmul.py:39:52
	v_add_co_u32 v100, s33, v98, v22
	s_delay_alu instid0(VALU_DEP_1) | instskip(SKIP_3) | instid1(SALU_CYCLE_1)
	v_add_co_ci_u32_e64 v101, null, v99, v23, s33
	.loc	1 41 21                         ; matmul.py:41:21
	global_store_b16 v[100:101], v180, off
	s_or_b32 exec_lo, exec_lo, s35
	.loc	1 40 39                         ; matmul.py:40:39
	s_and_b32 s33, s31, s11
	.loc	1 41 21                         ; matmul.py:41:21
	s_and_saveexec_b32 s35, s33
	s_cbranch_execz .LBB0_177
.LBB0_275:
	.loc	1 39 52                         ; matmul.py:39:52
	v_add_co_u32 v100, s33, v98, v24
	s_delay_alu instid0(VALU_DEP_1) | instskip(SKIP_3) | instid1(SALU_CYCLE_1)
	v_add_co_ci_u32_e64 v101, null, v99, v25, s33
	.loc	1 41 21                         ; matmul.py:41:21
	global_store_b16 v[100:101], v179, off
	s_or_b32 exec_lo, exec_lo, s35
	.loc	1 40 39                         ; matmul.py:40:39
	s_and_b32 s33, s31, s12
	.loc	1 41 21                         ; matmul.py:41:21
	s_and_saveexec_b32 s35, s33
	s_cbranch_execz .LBB0_178
.LBB0_276:
	.loc	1 39 52                         ; matmul.py:39:52
	v_add_co_u32 v100, s33, v98, v26
	s_delay_alu instid0(VALU_DEP_1) | instskip(SKIP_3) | instid1(SALU_CYCLE_1)
	v_add_co_ci_u32_e64 v101, null, v99, v27, s33
	.loc	1 41 21                         ; matmul.py:41:21
	global_store_b16 v[100:101], v178, off
	s_or_b32 exec_lo, exec_lo, s35
	.loc	1 40 39                         ; matmul.py:40:39
	s_and_b32 s33, s31, s13
	.loc	1 41 21                         ; matmul.py:41:21
	s_and_saveexec_b32 s35, s33
	s_cbranch_execz .LBB0_179
.LBB0_277:
	.loc	1 39 52                         ; matmul.py:39:52
	v_add_co_u32 v100, s33, v98, v28
	s_delay_alu instid0(VALU_DEP_1) | instskip(SKIP_3) | instid1(SALU_CYCLE_1)
	v_add_co_ci_u32_e64 v101, null, v99, v29, s33
	.loc	1 41 21                         ; matmul.py:41:21
	global_store_b16 v[100:101], v177, off
	s_or_b32 exec_lo, exec_lo, s35
	.loc	1 40 39                         ; matmul.py:40:39
	s_and_b32 s33, s31, s14
	.loc	1 41 21                         ; matmul.py:41:21
	s_and_saveexec_b32 s35, s33
	s_cbranch_execz .LBB0_180
.LBB0_278:
	.loc	1 39 52                         ; matmul.py:39:52
	v_add_co_u32 v100, s33, v98, v30
	s_delay_alu instid0(VALU_DEP_1) | instskip(SKIP_3) | instid1(SALU_CYCLE_1)
	v_add_co_ci_u32_e64 v101, null, v99, v31, s33
	.loc	1 41 21                         ; matmul.py:41:21
	global_store_b16 v[100:101], v176, off
	s_or_b32 exec_lo, exec_lo, s35
	.loc	1 40 39                         ; matmul.py:40:39
	s_and_b32 s33, s31, s15
	.loc	1 41 21                         ; matmul.py:41:21
	s_and_saveexec_b32 s35, s33
	s_cbranch_execz .LBB0_181
.LBB0_279:
	.loc	1 39 52                         ; matmul.py:39:52
	v_add_co_u32 v100, s33, v98, v32
	s_delay_alu instid0(VALU_DEP_1) | instskip(SKIP_3) | instid1(SALU_CYCLE_1)
	v_add_co_ci_u32_e64 v101, null, v99, v33, s33
	.loc	1 41 21                         ; matmul.py:41:21
	global_store_b16 v[100:101], v175, off
	s_or_b32 exec_lo, exec_lo, s35
	.loc	1 40 39                         ; matmul.py:40:39
	s_and_b32 s33, s31, s16
	.loc	1 41 21                         ; matmul.py:41:21
	s_and_saveexec_b32 s35, s33
	s_cbranch_execz .LBB0_182
.LBB0_280:
	.loc	1 39 52                         ; matmul.py:39:52
	v_add_co_u32 v100, s33, v98, v34
	s_delay_alu instid0(VALU_DEP_1) | instskip(SKIP_3) | instid1(SALU_CYCLE_1)
	v_add_co_ci_u32_e64 v101, null, v99, v35, s33
	.loc	1 41 21                         ; matmul.py:41:21
	global_store_b16 v[100:101], v174, off
	s_or_b32 exec_lo, exec_lo, s35
	.loc	1 40 39                         ; matmul.py:40:39
	s_and_b32 s33, s31, s17
	.loc	1 41 21                         ; matmul.py:41:21
	s_and_saveexec_b32 s35, s33
	s_cbranch_execz .LBB0_183
.LBB0_281:
	.loc	1 39 52                         ; matmul.py:39:52
	v_add_co_u32 v100, s33, v98, v36
	s_delay_alu instid0(VALU_DEP_1) | instskip(SKIP_3) | instid1(SALU_CYCLE_1)
	v_add_co_ci_u32_e64 v101, null, v99, v37, s33
	.loc	1 41 21                         ; matmul.py:41:21
	global_store_b16 v[100:101], v173, off
	s_or_b32 exec_lo, exec_lo, s35
	.loc	1 40 39                         ; matmul.py:40:39
	s_and_b32 s33, s31, s18
	.loc	1 41 21                         ; matmul.py:41:21
	s_and_saveexec_b32 s35, s33
	s_cbranch_execz .LBB0_184
.LBB0_282:
	.loc	1 39 52                         ; matmul.py:39:52
	v_add_co_u32 v100, s33, v98, v38
	s_delay_alu instid0(VALU_DEP_1) | instskip(SKIP_3) | instid1(SALU_CYCLE_1)
	v_add_co_ci_u32_e64 v101, null, v99, v39, s33
	.loc	1 41 21                         ; matmul.py:41:21
	global_store_b16 v[100:101], v172, off
	s_or_b32 exec_lo, exec_lo, s35
	.loc	1 40 39                         ; matmul.py:40:39
	s_and_b32 s33, s31, s19
	.loc	1 41 21                         ; matmul.py:41:21
	s_and_saveexec_b32 s35, s33
	s_cbranch_execz .LBB0_185
.LBB0_283:
	.loc	1 39 52                         ; matmul.py:39:52
	v_add_co_u32 v100, s33, v98, v40
	s_delay_alu instid0(VALU_DEP_1) | instskip(SKIP_3) | instid1(SALU_CYCLE_1)
	v_add_co_ci_u32_e64 v101, null, v99, v41, s33
	.loc	1 41 21                         ; matmul.py:41:21
	global_store_b16 v[100:101], v171, off
	s_or_b32 exec_lo, exec_lo, s35
	.loc	1 40 39                         ; matmul.py:40:39
	s_and_b32 s33, s31, s20
	.loc	1 41 21                         ; matmul.py:41:21
	s_and_saveexec_b32 s35, s33
	s_cbranch_execz .LBB0_186
.LBB0_284:
	.loc	1 39 52                         ; matmul.py:39:52
	v_add_co_u32 v100, s33, v98, v42
	s_delay_alu instid0(VALU_DEP_1) | instskip(SKIP_3) | instid1(SALU_CYCLE_1)
	v_add_co_ci_u32_e64 v101, null, v99, v43, s33
	.loc	1 41 21                         ; matmul.py:41:21
	global_store_b16 v[100:101], v170, off
	s_or_b32 exec_lo, exec_lo, s35
	.loc	1 40 39                         ; matmul.py:40:39
	s_and_b32 s33, s31, s21
	.loc	1 41 21                         ; matmul.py:41:21
	s_and_saveexec_b32 s35, s33
	s_cbranch_execz .LBB0_187
.LBB0_285:
	.loc	1 39 52                         ; matmul.py:39:52
	v_add_co_u32 v100, s33, v98, v44
	s_delay_alu instid0(VALU_DEP_1) | instskip(SKIP_3) | instid1(SALU_CYCLE_1)
	v_add_co_ci_u32_e64 v101, null, v99, v45, s33
	.loc	1 41 21                         ; matmul.py:41:21
	global_store_b16 v[100:101], v169, off
	s_or_b32 exec_lo, exec_lo, s35
	.loc	1 40 39                         ; matmul.py:40:39
	s_and_b32 s33, s31, s22
	.loc	1 41 21                         ; matmul.py:41:21
	s_and_saveexec_b32 s35, s33
	s_cbranch_execz .LBB0_188
.LBB0_286:
	.loc	1 39 52                         ; matmul.py:39:52
	v_add_co_u32 v100, s33, v98, v46
	s_delay_alu instid0(VALU_DEP_1) | instskip(SKIP_3) | instid1(SALU_CYCLE_1)
	v_add_co_ci_u32_e64 v101, null, v99, v47, s33
	.loc	1 41 21                         ; matmul.py:41:21
	global_store_b16 v[100:101], v168, off
	s_or_b32 exec_lo, exec_lo, s35
	.loc	1 40 39                         ; matmul.py:40:39
	s_and_b32 s33, s31, s23
	.loc	1 41 21                         ; matmul.py:41:21
	s_and_saveexec_b32 s35, s33
	s_cbranch_execz .LBB0_189
.LBB0_287:
	.loc	1 39 52                         ; matmul.py:39:52
	v_add_co_u32 v100, s33, v98, v48
	s_delay_alu instid0(VALU_DEP_1) | instskip(SKIP_3) | instid1(SALU_CYCLE_1)
	v_add_co_ci_u32_e64 v101, null, v99, v49, s33
	.loc	1 41 21                         ; matmul.py:41:21
	global_store_b16 v[100:101], v167, off
	s_or_b32 exec_lo, exec_lo, s35
	.loc	1 40 39                         ; matmul.py:40:39
	s_and_b32 s33, s31, s24
	.loc	1 41 21                         ; matmul.py:41:21
	s_and_saveexec_b32 s35, s33
	s_cbranch_execz .LBB0_190
.LBB0_288:
	.loc	1 39 52                         ; matmul.py:39:52
	v_add_co_u32 v100, s33, v98, v50
	s_delay_alu instid0(VALU_DEP_1) | instskip(SKIP_3) | instid1(SALU_CYCLE_1)
	v_add_co_ci_u32_e64 v101, null, v99, v51, s33
	.loc	1 41 21                         ; matmul.py:41:21
	global_store_b16 v[100:101], v166, off
	s_or_b32 exec_lo, exec_lo, s35
	.loc	1 40 39                         ; matmul.py:40:39
	s_and_b32 s33, s31, s25
	.loc	1 41 21                         ; matmul.py:41:21
	s_and_saveexec_b32 s35, s33
	s_cbranch_execz .LBB0_191
.LBB0_289:
	.loc	1 39 52                         ; matmul.py:39:52
	v_add_co_u32 v100, s33, v98, v52
	s_delay_alu instid0(VALU_DEP_1) | instskip(SKIP_3) | instid1(SALU_CYCLE_1)
	v_add_co_ci_u32_e64 v101, null, v99, v53, s33
	.loc	1 41 21                         ; matmul.py:41:21
	global_store_b16 v[100:101], v165, off
	s_or_b32 exec_lo, exec_lo, s35
	.loc	1 40 39                         ; matmul.py:40:39
	s_and_b32 s33, s31, s26
	.loc	1 41 21                         ; matmul.py:41:21
	s_and_saveexec_b32 s35, s33
	s_cbranch_execz .LBB0_192
.LBB0_290:
	.loc	1 39 52                         ; matmul.py:39:52
	v_add_co_u32 v100, s33, v98, v54
	s_delay_alu instid0(VALU_DEP_1) | instskip(SKIP_3) | instid1(SALU_CYCLE_1)
	v_add_co_ci_u32_e64 v101, null, v99, v55, s33
	.loc	1 41 21                         ; matmul.py:41:21
	global_store_b16 v[100:101], v164, off
	s_or_b32 exec_lo, exec_lo, s35
	.loc	1 40 39                         ; matmul.py:40:39
	s_and_b32 s33, s31, s27
	.loc	1 41 21                         ; matmul.py:41:21
	s_and_saveexec_b32 s35, s33
	s_cbranch_execz .LBB0_193
.LBB0_291:
	.loc	1 39 52                         ; matmul.py:39:52
	v_add_co_u32 v100, s33, v98, v56
	s_delay_alu instid0(VALU_DEP_1) | instskip(SKIP_3) | instid1(SALU_CYCLE_1)
	v_add_co_ci_u32_e64 v101, null, v99, v57, s33
	.loc	1 41 21                         ; matmul.py:41:21
	global_store_b16 v[100:101], v163, off
	s_or_b32 exec_lo, exec_lo, s35
	.loc	1 40 39                         ; matmul.py:40:39
	s_and_b32 s33, s31, s28
	.loc	1 41 21                         ; matmul.py:41:21
	s_and_saveexec_b32 s35, s33
	s_cbranch_execz .LBB0_194
.LBB0_292:
	.loc	1 39 52                         ; matmul.py:39:52
	v_add_co_u32 v100, s33, v98, v58
	s_delay_alu instid0(VALU_DEP_1) | instskip(SKIP_3) | instid1(SALU_CYCLE_1)
	v_add_co_ci_u32_e64 v101, null, v99, v59, s33
	.loc	1 41 21                         ; matmul.py:41:21
	global_store_b16 v[100:101], v162, off
	s_or_b32 exec_lo, exec_lo, s35
	.loc	1 40 39                         ; matmul.py:40:39
	s_and_b32 s33, s31, s29
	.loc	1 41 21                         ; matmul.py:41:21
	s_and_saveexec_b32 s35, s33
	s_cbranch_execz .LBB0_195
.LBB0_293:
	.loc	1 39 52                         ; matmul.py:39:52
	v_add_co_u32 v100, s33, v98, v60
	s_delay_alu instid0(VALU_DEP_1) | instskip(SKIP_3) | instid1(SALU_CYCLE_1)
	v_add_co_ci_u32_e64 v101, null, v99, v61, s33
	.loc	1 41 21                         ; matmul.py:41:21
	global_store_b16 v[100:101], v161, off
	s_or_b32 exec_lo, exec_lo, s35
	.loc	1 40 39                         ; matmul.py:40:39
	s_and_b32 s31, s31, s30
	.loc	1 41 21                         ; matmul.py:41:21
	s_and_saveexec_b32 s33, s31
	s_cbranch_execnz .LBB0_196
	s_branch .LBB0_197
.LBB0_294:
	.loc	1 39 52                         ; matmul.py:39:52
	v_add_co_u32 v100, s33, v98, v0
	s_delay_alu instid0(VALU_DEP_1) | instskip(SKIP_3) | instid1(SALU_CYCLE_1)
	v_add_co_ci_u32_e64 v101, null, v99, v1, s33
	.loc	1 41 21                         ; matmul.py:41:21
	global_store_b16 v[100:101], v159, off
	s_or_b32 exec_lo, exec_lo, s35
	.loc	1 40 39                         ; matmul.py:40:39
	s_and_b32 s33, s31, s0
	.loc	1 41 21                         ; matmul.py:41:21
	s_and_saveexec_b32 s35, s33
	s_cbranch_execz .LBB0_199
.LBB0_295:
	.loc	1 39 52                         ; matmul.py:39:52
	v_add_co_u32 v100, s33, v98, v2
	s_delay_alu instid0(VALU_DEP_1) | instskip(SKIP_3) | instid1(SALU_CYCLE_1)
	v_add_co_ci_u32_e64 v101, null, v99, v3, s33
	.loc	1 41 21                         ; matmul.py:41:21
	global_store_b16 v[100:101], v158, off
	s_or_b32 exec_lo, exec_lo, s35
	.loc	1 40 39                         ; matmul.py:40:39
	s_and_b32 s33, s31, s1
	.loc	1 41 21                         ; matmul.py:41:21
	s_and_saveexec_b32 s35, s33
	s_cbranch_execz .LBB0_200
.LBB0_296:
	.loc	1 39 52                         ; matmul.py:39:52
	v_add_co_u32 v100, s33, v98, v4
	s_delay_alu instid0(VALU_DEP_1) | instskip(SKIP_3) | instid1(SALU_CYCLE_1)
	v_add_co_ci_u32_e64 v101, null, v99, v5, s33
	.loc	1 41 21                         ; matmul.py:41:21
	global_store_b16 v[100:101], v157, off
	s_or_b32 exec_lo, exec_lo, s35
	.loc	1 40 39                         ; matmul.py:40:39
	s_and_b32 s33, s31, s2
	.loc	1 41 21                         ; matmul.py:41:21
	s_and_saveexec_b32 s35, s33
	s_cbranch_execz .LBB0_201
.LBB0_297:
	.loc	1 39 52                         ; matmul.py:39:52
	v_add_co_u32 v100, s33, v98, v6
	s_delay_alu instid0(VALU_DEP_1) | instskip(SKIP_3) | instid1(SALU_CYCLE_1)
	v_add_co_ci_u32_e64 v101, null, v99, v7, s33
	.loc	1 41 21                         ; matmul.py:41:21
	global_store_b16 v[100:101], v156, off
	s_or_b32 exec_lo, exec_lo, s35
	.loc	1 40 39                         ; matmul.py:40:39
	s_and_b32 s33, s31, s3
	.loc	1 41 21                         ; matmul.py:41:21
	s_and_saveexec_b32 s35, s33
	s_cbranch_execz .LBB0_202
.LBB0_298:
	.loc	1 39 52                         ; matmul.py:39:52
	v_add_co_u32 v100, s33, v98, v8
	s_delay_alu instid0(VALU_DEP_1) | instskip(SKIP_3) | instid1(SALU_CYCLE_1)
	v_add_co_ci_u32_e64 v101, null, v99, v9, s33
	.loc	1 41 21                         ; matmul.py:41:21
	global_store_b16 v[100:101], v155, off
	s_or_b32 exec_lo, exec_lo, s35
	.loc	1 40 39                         ; matmul.py:40:39
	s_and_b32 s33, s31, s4
	.loc	1 41 21                         ; matmul.py:41:21
	s_and_saveexec_b32 s35, s33
	s_cbranch_execz .LBB0_203
.LBB0_299:
	.loc	1 39 52                         ; matmul.py:39:52
	v_add_co_u32 v100, s33, v98, v10
	s_delay_alu instid0(VALU_DEP_1) | instskip(SKIP_3) | instid1(SALU_CYCLE_1)
	v_add_co_ci_u32_e64 v101, null, v99, v11, s33
	.loc	1 41 21                         ; matmul.py:41:21
	global_store_b16 v[100:101], v154, off
	s_or_b32 exec_lo, exec_lo, s35
	.loc	1 40 39                         ; matmul.py:40:39
	s_and_b32 s33, s31, s5
	.loc	1 41 21                         ; matmul.py:41:21
	s_and_saveexec_b32 s35, s33
	s_cbranch_execz .LBB0_204
.LBB0_300:
	.loc	1 39 52                         ; matmul.py:39:52
	v_add_co_u32 v100, s33, v98, v12
	s_delay_alu instid0(VALU_DEP_1) | instskip(SKIP_3) | instid1(SALU_CYCLE_1)
	v_add_co_ci_u32_e64 v101, null, v99, v13, s33
	.loc	1 41 21                         ; matmul.py:41:21
	global_store_b16 v[100:101], v153, off
	s_or_b32 exec_lo, exec_lo, s35
	.loc	1 40 39                         ; matmul.py:40:39
	s_and_b32 s33, s31, s6
	.loc	1 41 21                         ; matmul.py:41:21
	s_and_saveexec_b32 s35, s33
	s_cbranch_execz .LBB0_205
.LBB0_301:
	.loc	1 39 52                         ; matmul.py:39:52
	v_add_co_u32 v100, s33, v98, v14
	s_delay_alu instid0(VALU_DEP_1) | instskip(SKIP_3) | instid1(SALU_CYCLE_1)
	v_add_co_ci_u32_e64 v101, null, v99, v15, s33
	.loc	1 41 21                         ; matmul.py:41:21
	global_store_b16 v[100:101], v152, off
	s_or_b32 exec_lo, exec_lo, s35
	.loc	1 40 39                         ; matmul.py:40:39
	s_and_b32 s33, s31, s7
	.loc	1 41 21                         ; matmul.py:41:21
	s_and_saveexec_b32 s35, s33
	s_cbranch_execz .LBB0_206
.LBB0_302:
	.loc	1 39 52                         ; matmul.py:39:52
	v_add_co_u32 v100, s33, v98, v16
	s_delay_alu instid0(VALU_DEP_1) | instskip(SKIP_3) | instid1(SALU_CYCLE_1)
	v_add_co_ci_u32_e64 v101, null, v99, v17, s33
	.loc	1 41 21                         ; matmul.py:41:21
	global_store_b16 v[100:101], v151, off
	s_or_b32 exec_lo, exec_lo, s35
	.loc	1 40 39                         ; matmul.py:40:39
	s_and_b32 s33, s31, s8
	.loc	1 41 21                         ; matmul.py:41:21
	s_and_saveexec_b32 s35, s33
	s_cbranch_execz .LBB0_207
.LBB0_303:
	.loc	1 39 52                         ; matmul.py:39:52
	v_add_co_u32 v100, s33, v98, v18
	s_delay_alu instid0(VALU_DEP_1) | instskip(SKIP_3) | instid1(SALU_CYCLE_1)
	v_add_co_ci_u32_e64 v101, null, v99, v19, s33
	.loc	1 41 21                         ; matmul.py:41:21
	global_store_b16 v[100:101], v150, off
	s_or_b32 exec_lo, exec_lo, s35
	.loc	1 40 39                         ; matmul.py:40:39
	s_and_b32 s33, s31, s9
	.loc	1 41 21                         ; matmul.py:41:21
	s_and_saveexec_b32 s35, s33
	s_cbranch_execz .LBB0_208
.LBB0_304:
	.loc	1 39 52                         ; matmul.py:39:52
	v_add_co_u32 v100, s33, v98, v20
	s_delay_alu instid0(VALU_DEP_1) | instskip(SKIP_3) | instid1(SALU_CYCLE_1)
	v_add_co_ci_u32_e64 v101, null, v99, v21, s33
	.loc	1 41 21                         ; matmul.py:41:21
	global_store_b16 v[100:101], v149, off
	s_or_b32 exec_lo, exec_lo, s35
	.loc	1 40 39                         ; matmul.py:40:39
	s_and_b32 s33, s31, s10
	.loc	1 41 21                         ; matmul.py:41:21
	s_and_saveexec_b32 s35, s33
	s_cbranch_execz .LBB0_209
.LBB0_305:
	.loc	1 39 52                         ; matmul.py:39:52
	v_add_co_u32 v100, s33, v98, v22
	s_delay_alu instid0(VALU_DEP_1) | instskip(SKIP_3) | instid1(SALU_CYCLE_1)
	v_add_co_ci_u32_e64 v101, null, v99, v23, s33
	.loc	1 41 21                         ; matmul.py:41:21
	global_store_b16 v[100:101], v148, off
	s_or_b32 exec_lo, exec_lo, s35
	.loc	1 40 39                         ; matmul.py:40:39
	s_and_b32 s33, s31, s11
	.loc	1 41 21                         ; matmul.py:41:21
	s_and_saveexec_b32 s35, s33
	s_cbranch_execz .LBB0_210
.LBB0_306:
	.loc	1 39 52                         ; matmul.py:39:52
	v_add_co_u32 v100, s33, v98, v24
	s_delay_alu instid0(VALU_DEP_1) | instskip(SKIP_3) | instid1(SALU_CYCLE_1)
	v_add_co_ci_u32_e64 v101, null, v99, v25, s33
	.loc	1 41 21                         ; matmul.py:41:21
	global_store_b16 v[100:101], v147, off
	s_or_b32 exec_lo, exec_lo, s35
	.loc	1 40 39                         ; matmul.py:40:39
	s_and_b32 s33, s31, s12
	.loc	1 41 21                         ; matmul.py:41:21
	s_and_saveexec_b32 s35, s33
	s_cbranch_execz .LBB0_211
.LBB0_307:
	.loc	1 39 52                         ; matmul.py:39:52
	v_add_co_u32 v100, s33, v98, v26
	s_delay_alu instid0(VALU_DEP_1) | instskip(SKIP_3) | instid1(SALU_CYCLE_1)
	v_add_co_ci_u32_e64 v101, null, v99, v27, s33
	.loc	1 41 21                         ; matmul.py:41:21
	global_store_b16 v[100:101], v146, off
	s_or_b32 exec_lo, exec_lo, s35
	.loc	1 40 39                         ; matmul.py:40:39
	s_and_b32 s33, s31, s13
	.loc	1 41 21                         ; matmul.py:41:21
	s_and_saveexec_b32 s35, s33
	s_cbranch_execz .LBB0_212
.LBB0_308:
	.loc	1 39 52                         ; matmul.py:39:52
	v_add_co_u32 v100, s33, v98, v28
	s_delay_alu instid0(VALU_DEP_1) | instskip(SKIP_3) | instid1(SALU_CYCLE_1)
	v_add_co_ci_u32_e64 v101, null, v99, v29, s33
	.loc	1 41 21                         ; matmul.py:41:21
	global_store_b16 v[100:101], v145, off
	s_or_b32 exec_lo, exec_lo, s35
	.loc	1 40 39                         ; matmul.py:40:39
	s_and_b32 s33, s31, s14
	.loc	1 41 21                         ; matmul.py:41:21
	s_and_saveexec_b32 s35, s33
	s_cbranch_execz .LBB0_213
.LBB0_309:
	.loc	1 39 52                         ; matmul.py:39:52
	v_add_co_u32 v100, s33, v98, v30
	s_delay_alu instid0(VALU_DEP_1) | instskip(SKIP_3) | instid1(SALU_CYCLE_1)
	v_add_co_ci_u32_e64 v101, null, v99, v31, s33
	.loc	1 41 21                         ; matmul.py:41:21
	global_store_b16 v[100:101], v144, off
	s_or_b32 exec_lo, exec_lo, s35
	.loc	1 40 39                         ; matmul.py:40:39
	s_and_b32 s33, s31, s15
	.loc	1 41 21                         ; matmul.py:41:21
	s_and_saveexec_b32 s35, s33
	s_cbranch_execz .LBB0_214
.LBB0_310:
	.loc	1 39 52                         ; matmul.py:39:52
	v_add_co_u32 v100, s33, v98, v32
	s_delay_alu instid0(VALU_DEP_1) | instskip(SKIP_3) | instid1(SALU_CYCLE_1)
	v_add_co_ci_u32_e64 v101, null, v99, v33, s33
	.loc	1 41 21                         ; matmul.py:41:21
	global_store_b16 v[100:101], v143, off
	s_or_b32 exec_lo, exec_lo, s35
	.loc	1 40 39                         ; matmul.py:40:39
	s_and_b32 s33, s31, s16
	.loc	1 41 21                         ; matmul.py:41:21
	s_and_saveexec_b32 s35, s33
	s_cbranch_execz .LBB0_215
.LBB0_311:
	.loc	1 39 52                         ; matmul.py:39:52
	v_add_co_u32 v100, s33, v98, v34
	s_delay_alu instid0(VALU_DEP_1) | instskip(SKIP_3) | instid1(SALU_CYCLE_1)
	v_add_co_ci_u32_e64 v101, null, v99, v35, s33
	.loc	1 41 21                         ; matmul.py:41:21
	global_store_b16 v[100:101], v142, off
	s_or_b32 exec_lo, exec_lo, s35
	.loc	1 40 39                         ; matmul.py:40:39
	s_and_b32 s33, s31, s17
	.loc	1 41 21                         ; matmul.py:41:21
	s_and_saveexec_b32 s35, s33
	s_cbranch_execz .LBB0_216
.LBB0_312:
	.loc	1 39 52                         ; matmul.py:39:52
	v_add_co_u32 v100, s33, v98, v36
	s_delay_alu instid0(VALU_DEP_1) | instskip(SKIP_3) | instid1(SALU_CYCLE_1)
	v_add_co_ci_u32_e64 v101, null, v99, v37, s33
	.loc	1 41 21                         ; matmul.py:41:21
	global_store_b16 v[100:101], v141, off
	s_or_b32 exec_lo, exec_lo, s35
	.loc	1 40 39                         ; matmul.py:40:39
	s_and_b32 s33, s31, s18
	.loc	1 41 21                         ; matmul.py:41:21
	s_and_saveexec_b32 s35, s33
	s_cbranch_execz .LBB0_217
.LBB0_313:
	.loc	1 39 52                         ; matmul.py:39:52
	v_add_co_u32 v100, s33, v98, v38
	s_delay_alu instid0(VALU_DEP_1) | instskip(SKIP_3) | instid1(SALU_CYCLE_1)
	v_add_co_ci_u32_e64 v101, null, v99, v39, s33
	.loc	1 41 21                         ; matmul.py:41:21
	global_store_b16 v[100:101], v140, off
	s_or_b32 exec_lo, exec_lo, s35
	.loc	1 40 39                         ; matmul.py:40:39
	s_and_b32 s33, s31, s19
	.loc	1 41 21                         ; matmul.py:41:21
	s_and_saveexec_b32 s35, s33
	s_cbranch_execz .LBB0_218
.LBB0_314:
	.loc	1 39 52                         ; matmul.py:39:52
	v_add_co_u32 v100, s33, v98, v40
	s_delay_alu instid0(VALU_DEP_1) | instskip(SKIP_3) | instid1(SALU_CYCLE_1)
	v_add_co_ci_u32_e64 v101, null, v99, v41, s33
	.loc	1 41 21                         ; matmul.py:41:21
	global_store_b16 v[100:101], v139, off
	s_or_b32 exec_lo, exec_lo, s35
	.loc	1 40 39                         ; matmul.py:40:39
	s_and_b32 s33, s31, s20
	.loc	1 41 21                         ; matmul.py:41:21
	s_and_saveexec_b32 s35, s33
	s_cbranch_execz .LBB0_219
.LBB0_315:
	.loc	1 39 52                         ; matmul.py:39:52
	v_add_co_u32 v100, s33, v98, v42
	s_delay_alu instid0(VALU_DEP_1) | instskip(SKIP_3) | instid1(SALU_CYCLE_1)
	v_add_co_ci_u32_e64 v101, null, v99, v43, s33
	.loc	1 41 21                         ; matmul.py:41:21
	global_store_b16 v[100:101], v138, off
	s_or_b32 exec_lo, exec_lo, s35
	.loc	1 40 39                         ; matmul.py:40:39
	s_and_b32 s33, s31, s21
	.loc	1 41 21                         ; matmul.py:41:21
	s_and_saveexec_b32 s35, s33
	s_cbranch_execz .LBB0_220
.LBB0_316:
	.loc	1 39 52                         ; matmul.py:39:52
	v_add_co_u32 v100, s33, v98, v44
	s_delay_alu instid0(VALU_DEP_1) | instskip(SKIP_3) | instid1(SALU_CYCLE_1)
	v_add_co_ci_u32_e64 v101, null, v99, v45, s33
	.loc	1 41 21                         ; matmul.py:41:21
	global_store_b16 v[100:101], v137, off
	s_or_b32 exec_lo, exec_lo, s35
	.loc	1 40 39                         ; matmul.py:40:39
	s_and_b32 s33, s31, s22
	.loc	1 41 21                         ; matmul.py:41:21
	s_and_saveexec_b32 s35, s33
	s_cbranch_execz .LBB0_221
.LBB0_317:
	.loc	1 39 52                         ; matmul.py:39:52
	v_add_co_u32 v100, s33, v98, v46
	s_delay_alu instid0(VALU_DEP_1) | instskip(SKIP_3) | instid1(SALU_CYCLE_1)
	v_add_co_ci_u32_e64 v101, null, v99, v47, s33
	.loc	1 41 21                         ; matmul.py:41:21
	global_store_b16 v[100:101], v136, off
	s_or_b32 exec_lo, exec_lo, s35
	.loc	1 40 39                         ; matmul.py:40:39
	s_and_b32 s33, s31, s23
	.loc	1 41 21                         ; matmul.py:41:21
	s_and_saveexec_b32 s35, s33
	s_cbranch_execz .LBB0_222
.LBB0_318:
	.loc	1 39 52                         ; matmul.py:39:52
	v_add_co_u32 v100, s33, v98, v48
	s_delay_alu instid0(VALU_DEP_1) | instskip(SKIP_3) | instid1(SALU_CYCLE_1)
	v_add_co_ci_u32_e64 v101, null, v99, v49, s33
	.loc	1 41 21                         ; matmul.py:41:21
	global_store_b16 v[100:101], v135, off
	s_or_b32 exec_lo, exec_lo, s35
	.loc	1 40 39                         ; matmul.py:40:39
	s_and_b32 s33, s31, s24
	.loc	1 41 21                         ; matmul.py:41:21
	s_and_saveexec_b32 s35, s33
	s_cbranch_execz .LBB0_223
.LBB0_319:
	.loc	1 39 52                         ; matmul.py:39:52
	v_add_co_u32 v100, s33, v98, v50
	s_delay_alu instid0(VALU_DEP_1) | instskip(SKIP_3) | instid1(SALU_CYCLE_1)
	v_add_co_ci_u32_e64 v101, null, v99, v51, s33
	.loc	1 41 21                         ; matmul.py:41:21
	global_store_b16 v[100:101], v134, off
	s_or_b32 exec_lo, exec_lo, s35
	.loc	1 40 39                         ; matmul.py:40:39
	s_and_b32 s33, s31, s25
	.loc	1 41 21                         ; matmul.py:41:21
	s_and_saveexec_b32 s35, s33
	s_cbranch_execz .LBB0_224
.LBB0_320:
	.loc	1 39 52                         ; matmul.py:39:52
	v_add_co_u32 v100, s33, v98, v52
	s_delay_alu instid0(VALU_DEP_1) | instskip(SKIP_3) | instid1(SALU_CYCLE_1)
	v_add_co_ci_u32_e64 v101, null, v99, v53, s33
	.loc	1 41 21                         ; matmul.py:41:21
	global_store_b16 v[100:101], v133, off
	s_or_b32 exec_lo, exec_lo, s35
	.loc	1 40 39                         ; matmul.py:40:39
	s_and_b32 s33, s31, s26
	.loc	1 41 21                         ; matmul.py:41:21
	s_and_saveexec_b32 s35, s33
	s_cbranch_execz .LBB0_225
.LBB0_321:
	.loc	1 39 52                         ; matmul.py:39:52
	v_add_co_u32 v100, s33, v98, v54
	s_delay_alu instid0(VALU_DEP_1) | instskip(SKIP_3) | instid1(SALU_CYCLE_1)
	v_add_co_ci_u32_e64 v101, null, v99, v55, s33
	.loc	1 41 21                         ; matmul.py:41:21
	global_store_b16 v[100:101], v132, off
	s_or_b32 exec_lo, exec_lo, s35
	.loc	1 40 39                         ; matmul.py:40:39
	s_and_b32 s33, s31, s27
	.loc	1 41 21                         ; matmul.py:41:21
	s_and_saveexec_b32 s35, s33
	s_cbranch_execz .LBB0_226
.LBB0_322:
	.loc	1 39 52                         ; matmul.py:39:52
	v_add_co_u32 v100, s33, v98, v56
	s_delay_alu instid0(VALU_DEP_1) | instskip(SKIP_3) | instid1(SALU_CYCLE_1)
	v_add_co_ci_u32_e64 v101, null, v99, v57, s33
	.loc	1 41 21                         ; matmul.py:41:21
	global_store_b16 v[100:101], v131, off
	s_or_b32 exec_lo, exec_lo, s35
	.loc	1 40 39                         ; matmul.py:40:39
	s_and_b32 s33, s31, s28
	.loc	1 41 21                         ; matmul.py:41:21
	s_and_saveexec_b32 s35, s33
	s_cbranch_execz .LBB0_227
.LBB0_323:
	.loc	1 39 52                         ; matmul.py:39:52
	v_add_co_u32 v100, s33, v98, v58
	s_delay_alu instid0(VALU_DEP_1) | instskip(SKIP_3) | instid1(SALU_CYCLE_1)
	v_add_co_ci_u32_e64 v101, null, v99, v59, s33
	.loc	1 41 21                         ; matmul.py:41:21
	global_store_b16 v[100:101], v130, off
	s_or_b32 exec_lo, exec_lo, s35
	.loc	1 40 39                         ; matmul.py:40:39
	s_and_b32 s33, s31, s29
	.loc	1 41 21                         ; matmul.py:41:21
	s_and_saveexec_b32 s35, s33
	s_cbranch_execz .LBB0_228
.LBB0_324:
	.loc	1 39 52                         ; matmul.py:39:52
	v_add_co_u32 v100, s33, v98, v60
	s_delay_alu instid0(VALU_DEP_1) | instskip(SKIP_3) | instid1(SALU_CYCLE_1)
	v_add_co_ci_u32_e64 v101, null, v99, v61, s33
	.loc	1 41 21                         ; matmul.py:41:21
	global_store_b16 v[100:101], v129, off
	s_or_b32 exec_lo, exec_lo, s35
	.loc	1 40 39                         ; matmul.py:40:39
	s_and_b32 s31, s31, s30
	.loc	1 41 21                         ; matmul.py:41:21
	s_and_saveexec_b32 s33, s31
	s_cbranch_execnz .LBB0_229
	s_branch .LBB0_230
.LBB0_325:
	.loc	1 39 52                         ; matmul.py:39:52
	v_add_co_u32 v0, vcc_lo, v96, v0
	s_delay_alu instid0(VALU_DEP_1) | instskip(SKIP_3) | instid1(SALU_CYCLE_1)
	v_add_co_ci_u32_e64 v1, null, v97, v1, vcc_lo
	.loc	1 41 21                         ; matmul.py:41:21
	global_store_b16 v[0:1], v95, off
	s_or_b32 exec_lo, exec_lo, s33
	.loc	1 40 39                         ; matmul.py:40:39
	s_and_b32 s33, s31, s0
	.loc	1 41 21                         ; matmul.py:41:21
	s_and_saveexec_b32 s0, s33
	s_cbranch_execz .LBB0_232
.LBB0_326:
	.loc	1 39 52                         ; matmul.py:39:52
	v_add_co_u32 v0, vcc_lo, v96, v2
	s_delay_alu instid0(VALU_DEP_1) | instskip(SKIP_3) | instid1(SALU_CYCLE_1)
	v_add_co_ci_u32_e64 v1, null, v97, v3, vcc_lo
	.loc	1 41 21                         ; matmul.py:41:21
	global_store_b16 v[0:1], v94, off
	s_or_b32 exec_lo, exec_lo, s0
	.loc	1 40 39                         ; matmul.py:40:39
	s_and_b32 s1, s31, s1
	.loc	1 41 21                         ; matmul.py:41:21
	s_and_saveexec_b32 s0, s1
	s_cbranch_execz .LBB0_233
.LBB0_327:
	.loc	1 39 52                         ; matmul.py:39:52
	v_add_co_u32 v0, vcc_lo, v96, v4
	s_delay_alu instid0(VALU_DEP_1) | instskip(SKIP_3) | instid1(SALU_CYCLE_1)
	v_add_co_ci_u32_e64 v1, null, v97, v5, vcc_lo
	.loc	1 41 21                         ; matmul.py:41:21
	global_store_b16 v[0:1], v93, off
	s_or_b32 exec_lo, exec_lo, s0
	.loc	1 40 39                         ; matmul.py:40:39
	s_and_b32 s1, s31, s2
	.loc	1 41 21                         ; matmul.py:41:21
	s_and_saveexec_b32 s0, s1
	s_cbranch_execz .LBB0_234
.LBB0_328:
	.loc	1 39 52                         ; matmul.py:39:52
	v_add_co_u32 v0, vcc_lo, v96, v6
	s_delay_alu instid0(VALU_DEP_1) | instskip(SKIP_3) | instid1(SALU_CYCLE_1)
	v_add_co_ci_u32_e64 v1, null, v97, v7, vcc_lo
	.loc	1 41 21                         ; matmul.py:41:21
	global_store_b16 v[0:1], v92, off
	s_or_b32 exec_lo, exec_lo, s0
	.loc	1 40 39                         ; matmul.py:40:39
	s_and_b32 s1, s31, s3
	.loc	1 41 21                         ; matmul.py:41:21
	s_and_saveexec_b32 s0, s1
	s_cbranch_execz .LBB0_235
.LBB0_329:
	.loc	1 39 52                         ; matmul.py:39:52
	v_add_co_u32 v0, vcc_lo, v96, v8
	s_delay_alu instid0(VALU_DEP_1) | instskip(SKIP_3) | instid1(SALU_CYCLE_1)
	v_add_co_ci_u32_e64 v1, null, v97, v9, vcc_lo
	.loc	1 41 21                         ; matmul.py:41:21
	global_store_b16 v[0:1], v91, off
	s_or_b32 exec_lo, exec_lo, s0
	.loc	1 40 39                         ; matmul.py:40:39
	s_and_b32 s1, s31, s4
	.loc	1 41 21                         ; matmul.py:41:21
	s_and_saveexec_b32 s0, s1
	s_cbranch_execz .LBB0_236
.LBB0_330:
	.loc	1 39 52                         ; matmul.py:39:52
	v_add_co_u32 v0, vcc_lo, v96, v10
	s_delay_alu instid0(VALU_DEP_1) | instskip(SKIP_3) | instid1(SALU_CYCLE_1)
	v_add_co_ci_u32_e64 v1, null, v97, v11, vcc_lo
	.loc	1 41 21                         ; matmul.py:41:21
	global_store_b16 v[0:1], v90, off
	s_or_b32 exec_lo, exec_lo, s0
	.loc	1 40 39                         ; matmul.py:40:39
	s_and_b32 s1, s31, s5
	.loc	1 41 21                         ; matmul.py:41:21
	s_and_saveexec_b32 s0, s1
	s_cbranch_execz .LBB0_237
.LBB0_331:
	.loc	1 39 52                         ; matmul.py:39:52
	v_add_co_u32 v0, vcc_lo, v96, v12
	s_delay_alu instid0(VALU_DEP_1) | instskip(SKIP_3) | instid1(SALU_CYCLE_1)
	v_add_co_ci_u32_e64 v1, null, v97, v13, vcc_lo
	.loc	1 41 21                         ; matmul.py:41:21
	global_store_b16 v[0:1], v89, off
	s_or_b32 exec_lo, exec_lo, s0
	.loc	1 40 39                         ; matmul.py:40:39
	s_and_b32 s1, s31, s6
	.loc	1 41 21                         ; matmul.py:41:21
	s_and_saveexec_b32 s0, s1
	s_cbranch_execz .LBB0_238
.LBB0_332:
	.loc	1 39 52                         ; matmul.py:39:52
	v_add_co_u32 v0, vcc_lo, v96, v14
	s_delay_alu instid0(VALU_DEP_1) | instskip(SKIP_3) | instid1(SALU_CYCLE_1)
	v_add_co_ci_u32_e64 v1, null, v97, v15, vcc_lo
	.loc	1 41 21                         ; matmul.py:41:21
	global_store_b16 v[0:1], v88, off
	s_or_b32 exec_lo, exec_lo, s0
	.loc	1 40 39                         ; matmul.py:40:39
	s_and_b32 s1, s31, s7
	.loc	1 41 21                         ; matmul.py:41:21
	s_and_saveexec_b32 s0, s1
	s_cbranch_execz .LBB0_239
.LBB0_333:
	.loc	1 39 52                         ; matmul.py:39:52
	v_add_co_u32 v0, vcc_lo, v96, v16
	s_delay_alu instid0(VALU_DEP_1) | instskip(SKIP_3) | instid1(SALU_CYCLE_1)
	v_add_co_ci_u32_e64 v1, null, v97, v17, vcc_lo
	.loc	1 41 21                         ; matmul.py:41:21
	global_store_b16 v[0:1], v87, off
	s_or_b32 exec_lo, exec_lo, s0
	.loc	1 40 39                         ; matmul.py:40:39
	s_and_b32 s1, s31, s8
	.loc	1 41 21                         ; matmul.py:41:21
	s_and_saveexec_b32 s0, s1
	s_cbranch_execz .LBB0_240
.LBB0_334:
	.loc	1 39 52                         ; matmul.py:39:52
	v_add_co_u32 v0, vcc_lo, v96, v18
	s_delay_alu instid0(VALU_DEP_1) | instskip(SKIP_3) | instid1(SALU_CYCLE_1)
	v_add_co_ci_u32_e64 v1, null, v97, v19, vcc_lo
	.loc	1 41 21                         ; matmul.py:41:21
	global_store_b16 v[0:1], v86, off
	s_or_b32 exec_lo, exec_lo, s0
	.loc	1 40 39                         ; matmul.py:40:39
	s_and_b32 s1, s31, s9
	.loc	1 41 21                         ; matmul.py:41:21
	s_and_saveexec_b32 s0, s1
	s_cbranch_execz .LBB0_241
.LBB0_335:
	.loc	1 39 52                         ; matmul.py:39:52
	v_add_co_u32 v0, vcc_lo, v96, v20
	s_delay_alu instid0(VALU_DEP_1) | instskip(SKIP_3) | instid1(SALU_CYCLE_1)
	v_add_co_ci_u32_e64 v1, null, v97, v21, vcc_lo
	.loc	1 41 21                         ; matmul.py:41:21
	global_store_b16 v[0:1], v85, off
	s_or_b32 exec_lo, exec_lo, s0
	.loc	1 40 39                         ; matmul.py:40:39
	s_and_b32 s1, s31, s10
	.loc	1 41 21                         ; matmul.py:41:21
	s_and_saveexec_b32 s0, s1
	s_cbranch_execz .LBB0_242
.LBB0_336:
	.loc	1 39 52                         ; matmul.py:39:52
	v_add_co_u32 v0, vcc_lo, v96, v22
	s_delay_alu instid0(VALU_DEP_1) | instskip(SKIP_3) | instid1(SALU_CYCLE_1)
	v_add_co_ci_u32_e64 v1, null, v97, v23, vcc_lo
	.loc	1 41 21                         ; matmul.py:41:21
	global_store_b16 v[0:1], v84, off
	s_or_b32 exec_lo, exec_lo, s0
	.loc	1 40 39                         ; matmul.py:40:39
	s_and_b32 s1, s31, s11
	.loc	1 41 21                         ; matmul.py:41:21
	s_and_saveexec_b32 s0, s1
	s_cbranch_execz .LBB0_243
.LBB0_337:
	.loc	1 39 52                         ; matmul.py:39:52
	v_add_co_u32 v0, vcc_lo, v96, v24
	s_delay_alu instid0(VALU_DEP_1) | instskip(SKIP_3) | instid1(SALU_CYCLE_1)
	v_add_co_ci_u32_e64 v1, null, v97, v25, vcc_lo
	.loc	1 41 21                         ; matmul.py:41:21
	global_store_b16 v[0:1], v83, off
	s_or_b32 exec_lo, exec_lo, s0
	.loc	1 40 39                         ; matmul.py:40:39
	s_and_b32 s1, s31, s12
	.loc	1 41 21                         ; matmul.py:41:21
	s_and_saveexec_b32 s0, s1
	s_cbranch_execz .LBB0_244
.LBB0_338:
	.loc	1 39 52                         ; matmul.py:39:52
	v_add_co_u32 v0, vcc_lo, v96, v26
	s_delay_alu instid0(VALU_DEP_1) | instskip(SKIP_3) | instid1(SALU_CYCLE_1)
	v_add_co_ci_u32_e64 v1, null, v97, v27, vcc_lo
	.loc	1 41 21                         ; matmul.py:41:21
	global_store_b16 v[0:1], v82, off
	s_or_b32 exec_lo, exec_lo, s0
	.loc	1 40 39                         ; matmul.py:40:39
	s_and_b32 s1, s31, s13
	.loc	1 41 21                         ; matmul.py:41:21
	s_and_saveexec_b32 s0, s1
	s_cbranch_execz .LBB0_245
.LBB0_339:
	.loc	1 39 52                         ; matmul.py:39:52
	v_add_co_u32 v0, vcc_lo, v96, v28
	s_delay_alu instid0(VALU_DEP_1) | instskip(SKIP_3) | instid1(SALU_CYCLE_1)
	v_add_co_ci_u32_e64 v1, null, v97, v29, vcc_lo
	.loc	1 41 21                         ; matmul.py:41:21
	global_store_b16 v[0:1], v81, off
	s_or_b32 exec_lo, exec_lo, s0
	.loc	1 40 39                         ; matmul.py:40:39
	s_and_b32 s1, s31, s14
	.loc	1 41 21                         ; matmul.py:41:21
	s_and_saveexec_b32 s0, s1
	s_cbranch_execz .LBB0_246
.LBB0_340:
	.loc	1 39 52                         ; matmul.py:39:52
	v_add_co_u32 v0, vcc_lo, v96, v30
	s_delay_alu instid0(VALU_DEP_1) | instskip(SKIP_3) | instid1(SALU_CYCLE_1)
	v_add_co_ci_u32_e64 v1, null, v97, v31, vcc_lo
	.loc	1 41 21                         ; matmul.py:41:21
	global_store_b16 v[0:1], v80, off
	s_or_b32 exec_lo, exec_lo, s0
	.loc	1 40 39                         ; matmul.py:40:39
	s_and_b32 s1, s31, s15
	.loc	1 41 21                         ; matmul.py:41:21
	s_and_saveexec_b32 s0, s1
	s_cbranch_execz .LBB0_247
.LBB0_341:
	.loc	1 39 52                         ; matmul.py:39:52
	v_add_co_u32 v0, vcc_lo, v96, v32
	s_delay_alu instid0(VALU_DEP_1) | instskip(SKIP_3) | instid1(SALU_CYCLE_1)
	v_add_co_ci_u32_e64 v1, null, v97, v33, vcc_lo
	.loc	1 41 21                         ; matmul.py:41:21
	global_store_b16 v[0:1], v79, off
	s_or_b32 exec_lo, exec_lo, s0
	.loc	1 40 39                         ; matmul.py:40:39
	s_and_b32 s1, s31, s16
	.loc	1 41 21                         ; matmul.py:41:21
	s_and_saveexec_b32 s0, s1
	s_cbranch_execz .LBB0_248
.LBB0_342:
	.loc	1 39 52                         ; matmul.py:39:52
	v_add_co_u32 v0, vcc_lo, v96, v34
	s_delay_alu instid0(VALU_DEP_1) | instskip(SKIP_3) | instid1(SALU_CYCLE_1)
	v_add_co_ci_u32_e64 v1, null, v97, v35, vcc_lo
	.loc	1 41 21                         ; matmul.py:41:21
	global_store_b16 v[0:1], v78, off
	s_or_b32 exec_lo, exec_lo, s0
	.loc	1 40 39                         ; matmul.py:40:39
	s_and_b32 s1, s31, s17
	.loc	1 41 21                         ; matmul.py:41:21
	s_and_saveexec_b32 s0, s1
	s_cbranch_execz .LBB0_249
.LBB0_343:
	.loc	1 39 52                         ; matmul.py:39:52
	v_add_co_u32 v0, vcc_lo, v96, v36
	s_delay_alu instid0(VALU_DEP_1) | instskip(SKIP_3) | instid1(SALU_CYCLE_1)
	v_add_co_ci_u32_e64 v1, null, v97, v37, vcc_lo
	.loc	1 41 21                         ; matmul.py:41:21
	global_store_b16 v[0:1], v77, off
	s_or_b32 exec_lo, exec_lo, s0
	.loc	1 40 39                         ; matmul.py:40:39
	s_and_b32 s1, s31, s18
	.loc	1 41 21                         ; matmul.py:41:21
	s_and_saveexec_b32 s0, s1
	s_cbranch_execz .LBB0_250
.LBB0_344:
	.loc	1 39 52                         ; matmul.py:39:52
	v_add_co_u32 v0, vcc_lo, v96, v38
	s_delay_alu instid0(VALU_DEP_1) | instskip(SKIP_3) | instid1(SALU_CYCLE_1)
	v_add_co_ci_u32_e64 v1, null, v97, v39, vcc_lo
	.loc	1 41 21                         ; matmul.py:41:21
	global_store_b16 v[0:1], v76, off
	s_or_b32 exec_lo, exec_lo, s0
	.loc	1 40 39                         ; matmul.py:40:39
	s_and_b32 s1, s31, s19
	.loc	1 41 21                         ; matmul.py:41:21
	s_and_saveexec_b32 s0, s1
	s_cbranch_execz .LBB0_251
.LBB0_345:
	.loc	1 39 52                         ; matmul.py:39:52
	v_add_co_u32 v0, vcc_lo, v96, v40
	s_delay_alu instid0(VALU_DEP_1) | instskip(SKIP_3) | instid1(SALU_CYCLE_1)
	v_add_co_ci_u32_e64 v1, null, v97, v41, vcc_lo
	.loc	1 41 21                         ; matmul.py:41:21
	global_store_b16 v[0:1], v75, off
	s_or_b32 exec_lo, exec_lo, s0
	.loc	1 40 39                         ; matmul.py:40:39
	s_and_b32 s1, s31, s20
	.loc	1 41 21                         ; matmul.py:41:21
	s_and_saveexec_b32 s0, s1
	s_cbranch_execz .LBB0_252
.LBB0_346:
	.loc	1 39 52                         ; matmul.py:39:52
	v_add_co_u32 v0, vcc_lo, v96, v42
	s_delay_alu instid0(VALU_DEP_1) | instskip(SKIP_3) | instid1(SALU_CYCLE_1)
	v_add_co_ci_u32_e64 v1, null, v97, v43, vcc_lo
	.loc	1 41 21                         ; matmul.py:41:21
	global_store_b16 v[0:1], v74, off
	s_or_b32 exec_lo, exec_lo, s0
	.loc	1 40 39                         ; matmul.py:40:39
	s_and_b32 s1, s31, s21
	.loc	1 41 21                         ; matmul.py:41:21
	s_and_saveexec_b32 s0, s1
	s_cbranch_execz .LBB0_253
.LBB0_347:
	.loc	1 39 52                         ; matmul.py:39:52
	v_add_co_u32 v0, vcc_lo, v96, v44
	s_delay_alu instid0(VALU_DEP_1) | instskip(SKIP_3) | instid1(SALU_CYCLE_1)
	v_add_co_ci_u32_e64 v1, null, v97, v45, vcc_lo
	.loc	1 41 21                         ; matmul.py:41:21
	global_store_b16 v[0:1], v73, off
	s_or_b32 exec_lo, exec_lo, s0
	.loc	1 40 39                         ; matmul.py:40:39
	s_and_b32 s1, s31, s22
	.loc	1 41 21                         ; matmul.py:41:21
	s_and_saveexec_b32 s0, s1
	s_cbranch_execz .LBB0_254
.LBB0_348:
	.loc	1 39 52                         ; matmul.py:39:52
	v_add_co_u32 v0, vcc_lo, v96, v46
	s_delay_alu instid0(VALU_DEP_1) | instskip(SKIP_3) | instid1(SALU_CYCLE_1)
	v_add_co_ci_u32_e64 v1, null, v97, v47, vcc_lo
	.loc	1 41 21                         ; matmul.py:41:21
	global_store_b16 v[0:1], v72, off
	s_or_b32 exec_lo, exec_lo, s0
	.loc	1 40 39                         ; matmul.py:40:39
	s_and_b32 s1, s31, s23
	.loc	1 41 21                         ; matmul.py:41:21
	s_and_saveexec_b32 s0, s1
	s_cbranch_execz .LBB0_255
.LBB0_349:
	.loc	1 39 52                         ; matmul.py:39:52
	v_add_co_u32 v0, vcc_lo, v96, v48
	s_delay_alu instid0(VALU_DEP_1) | instskip(SKIP_3) | instid1(SALU_CYCLE_1)
	v_add_co_ci_u32_e64 v1, null, v97, v49, vcc_lo
	.loc	1 41 21                         ; matmul.py:41:21
	global_store_b16 v[0:1], v71, off
	s_or_b32 exec_lo, exec_lo, s0
	.loc	1 40 39                         ; matmul.py:40:39
	s_and_b32 s1, s31, s24
	.loc	1 41 21                         ; matmul.py:41:21
	s_and_saveexec_b32 s0, s1
	s_cbranch_execz .LBB0_256
.LBB0_350:
	.loc	1 39 52                         ; matmul.py:39:52
	v_add_co_u32 v0, vcc_lo, v96, v50
	s_delay_alu instid0(VALU_DEP_1) | instskip(SKIP_3) | instid1(SALU_CYCLE_1)
	v_add_co_ci_u32_e64 v1, null, v97, v51, vcc_lo
	.loc	1 41 21                         ; matmul.py:41:21
	global_store_b16 v[0:1], v70, off
	s_or_b32 exec_lo, exec_lo, s0
	.loc	1 40 39                         ; matmul.py:40:39
	s_and_b32 s1, s31, s25
	.loc	1 41 21                         ; matmul.py:41:21
	s_and_saveexec_b32 s0, s1
	s_cbranch_execz .LBB0_257
.LBB0_351:
	.loc	1 39 52                         ; matmul.py:39:52
	v_add_co_u32 v0, vcc_lo, v96, v52
	s_delay_alu instid0(VALU_DEP_1) | instskip(SKIP_3) | instid1(SALU_CYCLE_1)
	v_add_co_ci_u32_e64 v1, null, v97, v53, vcc_lo
	.loc	1 41 21                         ; matmul.py:41:21
	global_store_b16 v[0:1], v69, off
	s_or_b32 exec_lo, exec_lo, s0
	.loc	1 40 39                         ; matmul.py:40:39
	s_and_b32 s1, s31, s26
	.loc	1 41 21                         ; matmul.py:41:21
	s_and_saveexec_b32 s0, s1
	s_cbranch_execz .LBB0_258
.LBB0_352:
	.loc	1 39 52                         ; matmul.py:39:52
	v_add_co_u32 v0, vcc_lo, v96, v54
	s_delay_alu instid0(VALU_DEP_1) | instskip(SKIP_3) | instid1(SALU_CYCLE_1)
	v_add_co_ci_u32_e64 v1, null, v97, v55, vcc_lo
	.loc	1 41 21                         ; matmul.py:41:21
	global_store_b16 v[0:1], v68, off
	s_or_b32 exec_lo, exec_lo, s0
	.loc	1 40 39                         ; matmul.py:40:39
	s_and_b32 s1, s31, s27
	.loc	1 41 21                         ; matmul.py:41:21
	s_and_saveexec_b32 s0, s1
	s_cbranch_execz .LBB0_259
.LBB0_353:
	.loc	1 39 52                         ; matmul.py:39:52
	v_add_co_u32 v0, vcc_lo, v96, v56
	s_delay_alu instid0(VALU_DEP_1) | instskip(SKIP_3) | instid1(SALU_CYCLE_1)
	v_add_co_ci_u32_e64 v1, null, v97, v57, vcc_lo
	.loc	1 41 21                         ; matmul.py:41:21
	global_store_b16 v[0:1], v67, off
	s_or_b32 exec_lo, exec_lo, s0
	.loc	1 40 39                         ; matmul.py:40:39
	s_and_b32 s1, s31, s28
	.loc	1 41 21                         ; matmul.py:41:21
	s_and_saveexec_b32 s0, s1
	s_cbranch_execz .LBB0_260
.LBB0_354:
	.loc	1 39 52                         ; matmul.py:39:52
	v_add_co_u32 v0, vcc_lo, v96, v58
	s_delay_alu instid0(VALU_DEP_1) | instskip(SKIP_3) | instid1(SALU_CYCLE_1)
	v_add_co_ci_u32_e64 v1, null, v97, v59, vcc_lo
	.loc	1 41 21                         ; matmul.py:41:21
	global_store_b16 v[0:1], v66, off
	s_or_b32 exec_lo, exec_lo, s0
	.loc	1 40 39                         ; matmul.py:40:39
	s_and_b32 s1, s31, s29
	.loc	1 41 21                         ; matmul.py:41:21
	s_and_saveexec_b32 s0, s1
	s_cbranch_execz .LBB0_261
.LBB0_355:
	.loc	1 39 52                         ; matmul.py:39:52
	v_add_co_u32 v0, vcc_lo, v96, v60
	s_delay_alu instid0(VALU_DEP_1) | instskip(SKIP_3) | instid1(SALU_CYCLE_1)
	v_add_co_ci_u32_e64 v1, null, v97, v61, vcc_lo
	.loc	1 41 21                         ; matmul.py:41:21
	global_store_b16 v[0:1], v65, off
	s_or_b32 exec_lo, exec_lo, s0
	.loc	1 40 39                         ; matmul.py:40:39
	s_and_b32 s0, s31, s30
	.loc	1 41 21                         ; matmul.py:41:21
	s_and_saveexec_b32 s1, s0
	s_cbranch_execz .LBB0_262
.LBB0_356:
	.loc	1 39 52                         ; matmul.py:39:52
	v_add_co_u32 v0, vcc_lo, v96, v62
	s_delay_alu instid0(VALU_DEP_1)
	v_add_co_ci_u32_e64 v1, null, v97, v63, vcc_lo
	.loc	1 41 21                         ; matmul.py:41:21
	global_store_b16 v[0:1], v64, off
	.loc	1 41 4 is_stmt 0                ; matmul.py:41:4
	s_endpgm
.Ltmp22:
	.section	.rodata,"a",@progbits
	.p2align	6, 0x0
	.amdhsa_kernel matmul_kernel
		.amdhsa_group_segment_fixed_size 0
		.amdhsa_private_segment_fixed_size 500
		.amdhsa_kernarg_size 80
		.amdhsa_user_sgpr_count 15
		.amdhsa_user_sgpr_dispatch_ptr 0
		.amdhsa_user_sgpr_queue_ptr 0
		.amdhsa_user_sgpr_kernarg_segment_ptr 1
		.amdhsa_user_sgpr_dispatch_id 0
		.amdhsa_user_sgpr_private_segment_size 0
		.amdhsa_wavefront_size32 1
		.amdhsa_uses_dynamic_stack 0
		.amdhsa_enable_private_segment 1
		.amdhsa_system_sgpr_workgroup_id_x 1
		.amdhsa_system_sgpr_workgroup_id_y 0
		.amdhsa_system_sgpr_workgroup_id_z 0
		.amdhsa_system_sgpr_workgroup_info 0
		.amdhsa_system_vgpr_workitem_id 0
		.amdhsa_next_free_vgpr 256
		.amdhsa_next_free_sgpr 40
		.amdhsa_reserve_vcc 1
		.amdhsa_float_round_mode_32 0
		.amdhsa_float_round_mode_16_64 0
		.amdhsa_float_denorm_mode_32 3
		.amdhsa_float_denorm_mode_16_64 3
		.amdhsa_dx10_clamp 1
		.amdhsa_ieee_mode 1
		.amdhsa_fp16_overflow 0
		.amdhsa_workgroup_processor_mode 1
		.amdhsa_memory_ordered 1
		.amdhsa_forward_progress 1
		.amdhsa_shared_vgpr_count 0
		.amdhsa_inst_pref_size 63
		.amdhsa_exception_fp_ieee_invalid_op 0
		.amdhsa_exception_fp_denorm_src 0
		.amdhsa_exception_fp_ieee_div_zero 0
		.amdhsa_exception_fp_ieee_overflow 0
		.amdhsa_exception_fp_ieee_underflow 0
		.amdhsa_exception_fp_ieee_inexact 0
		.amdhsa_exception_int_div_zero 0
	.end_amdhsa_kernel
	.text
.Lfunc_end0:
	.size	matmul_kernel, .Lfunc_end0-matmul_kernel
	.cfi_endproc
                                        ; -- End function
	.set matmul_kernel.num_vgpr, 256
	.set matmul_kernel.num_agpr, 0
	.set matmul_kernel.numbered_sgpr, 40
	.set matmul_kernel.num_named_barrier, 0
	.set matmul_kernel.private_seg_size, 500
	.set matmul_kernel.uses_vcc, 1
	.set matmul_kernel.uses_flat_scratch, 1
	.set matmul_kernel.has_dyn_sized_stack, 0
	.set matmul_kernel.has_recursion, 0
	.set matmul_kernel.has_indirect_call, 0
	.section	.AMDGPU.csdata,"",@progbits
; Kernel info:
; codeLenInByte = 20684
; TotalNumSgprs: 42
; NumVgprs: 256
; ScratchSize: 500
; MemoryBound: 0
; FloatMode: 240
; IeeeMode: 1
; LDSByteSize: 0 bytes/workgroup (compile time only)
; SGPRBlocks: 0
; VGPRBlocks: 31
; NumSGPRsForWavesPerEU: 42
; NumVGPRsForWavesPerEU: 256
; Occupancy: 5
; WaveLimiterHint : 0
; COMPUTE_PGM_RSRC2:SCRATCH_EN: 1
; COMPUTE_PGM_RSRC2:USER_SGPR: 15
; COMPUTE_PGM_RSRC2:TRAP_HANDLER: 0
; COMPUTE_PGM_RSRC2:TGID_X_EN: 1
; COMPUTE_PGM_RSRC2:TGID_Y_EN: 0
; COMPUTE_PGM_RSRC2:TGID_Z_EN: 0
; COMPUTE_PGM_RSRC2:TIDIG_COMP_CNT: 0
	.text
	.p2alignl 7, 3214868480
	.fill 96, 4, 3214868480
	.section	.AMDGPU.gpr_maximums,"",@progbits
	.set amdgpu.max_num_vgpr, 0
	.set amdgpu.max_num_agpr, 0
	.set amdgpu.max_num_sgpr, 0
	.set amdgpu.max_num_named_barrier, 0
	.text
	.section	.debug_abbrev,"",@progbits
	.byte	1                               ; Abbreviation Code
	.byte	17                              ; DW_TAG_compile_unit
	.byte	1                               ; DW_CHILDREN_yes
	.byte	37                              ; DW_AT_producer
	.byte	14                              ; DW_FORM_strp
	.byte	19                              ; DW_AT_language
	.byte	5                               ; DW_FORM_data2
	.byte	3                               ; DW_AT_name
	.byte	14                              ; DW_FORM_strp
	.byte	16                              ; DW_AT_stmt_list
	.byte	23                              ; DW_FORM_sec_offset
	.byte	27                              ; DW_AT_comp_dir
	.byte	14                              ; DW_FORM_strp
	.byte	17                              ; DW_AT_low_pc
	.byte	1                               ; DW_FORM_addr
	.byte	18                              ; DW_AT_high_pc
	.byte	6                               ; DW_FORM_data4
	.byte	0                               ; EOM(1)
	.byte	0                               ; EOM(2)
	.byte	2                               ; Abbreviation Code
	.byte	46                              ; DW_TAG_subprogram
	.byte	0                               ; DW_CHILDREN_no
	.byte	3                               ; DW_AT_name
	.byte	14                              ; DW_FORM_strp
	.byte	32                              ; DW_AT_inline
	.byte	11                              ; DW_FORM_data1
	.byte	0                               ; EOM(1)
	.byte	0                               ; EOM(2)
	.byte	3                               ; Abbreviation Code
	.byte	46                              ; DW_TAG_subprogram
	.byte	1                               ; DW_CHILDREN_yes
	.byte	17                              ; DW_AT_low_pc
	.byte	1                               ; DW_FORM_addr
	.byte	18                              ; DW_AT_high_pc
	.byte	6                               ; DW_FORM_data4
	.byte	49                              ; DW_AT_abstract_origin
	.byte	19                              ; DW_FORM_ref4
	.byte	0                               ; EOM(1)
	.byte	0                               ; EOM(2)
	.byte	4                               ; Abbreviation Code
	.byte	29                              ; DW_TAG_inlined_subroutine
	.byte	0                               ; DW_CHILDREN_no
	.byte	49                              ; DW_AT_abstract_origin
	.byte	19                              ; DW_FORM_ref4
	.byte	85                              ; DW_AT_ranges
	.byte	23                              ; DW_FORM_sec_offset
	.byte	88                              ; DW_AT_call_file
	.byte	11                              ; DW_FORM_data1
	.byte	89                              ; DW_AT_call_line
	.byte	11                              ; DW_FORM_data1
	.byte	87                              ; DW_AT_call_column
	.byte	11                              ; DW_FORM_data1
	.byte	0                               ; EOM(1)
	.byte	0                               ; EOM(2)
	;; [unrolled: 1-line block ×3, first 2 shown]
	.section	.debug_info,"",@progbits
.Lcu_begin0:
	.long	.Ldebug_info_end0-.Ldebug_info_start0 ; Length of Unit
.Ldebug_info_start0:
	.short	4                               ; DWARF version number
	.long	.debug_abbrev                   ; Offset Into Abbrev. Section
	.byte	8                               ; Address Size (in bytes)
	.byte	1                               ; Abbrev [1] 0xb:0x5c DW_TAG_compile_unit
	.long	.Linfo_string0                  ; DW_AT_producer
	.short	2                               ; DW_AT_language
	.long	.Linfo_string1                  ; DW_AT_name
	.long	.Lline_table_start0             ; DW_AT_stmt_list
	.long	.Linfo_string2                  ; DW_AT_comp_dir
	.quad	.Lfunc_begin0                   ; DW_AT_low_pc
	.long	.Lfunc_end0-.Lfunc_begin0       ; DW_AT_high_pc
	.byte	2                               ; Abbrev [2] 0x2a:0x6 DW_TAG_subprogram
	.long	.Linfo_string3                  ; DW_AT_name
	.byte	1                               ; DW_AT_inline
	.byte	3                               ; Abbrev [3] 0x30:0x36 DW_TAG_subprogram
	.quad	.Lfunc_begin0                   ; DW_AT_low_pc
	.long	.Lfunc_end0-.Lfunc_begin0       ; DW_AT_high_pc
	.long	42                              ; DW_AT_abstract_origin
	.byte	4                               ; Abbrev [4] 0x41:0xc DW_TAG_inlined_subroutine
	.long	42                              ; DW_AT_abstract_origin
	.long	.Ldebug_ranges0                 ; DW_AT_ranges
	.byte	1                               ; DW_AT_call_file
	.byte	14                              ; DW_AT_call_line
	.byte	27                              ; DW_AT_call_column
	.byte	4                               ; Abbrev [4] 0x4d:0xc DW_TAG_inlined_subroutine
	.long	42                              ; DW_AT_abstract_origin
	.long	.Ldebug_ranges1                 ; DW_AT_ranges
	.byte	1                               ; DW_AT_call_file
	.byte	13                              ; DW_AT_call_line
	.byte	27                              ; DW_AT_call_column
	;; [unrolled: 6-line block ×3, first 2 shown]
	.byte	0                               ; End Of Children Mark
	.byte	0                               ; End Of Children Mark
.Ldebug_info_end0:
	.section	.debug_ranges,"",@progbits
.Ldebug_ranges0:
	.quad	.Ltmp1-.Lfunc_begin0
	.quad	.Ltmp2-.Lfunc_begin0
	;; [unrolled: 1-line block ×10, first 2 shown]
	.quad	0
	.quad	0
.Ldebug_ranges1:
	.quad	.Ltmp2-.Lfunc_begin0
	.quad	.Ltmp3-.Lfunc_begin0
	;; [unrolled: 1-line block ×10, first 2 shown]
	.quad	0
	.quad	0
.Ldebug_ranges2:
	.quad	.Ltmp12-.Lfunc_begin0
	.quad	.Ltmp13-.Lfunc_begin0
	;; [unrolled: 1-line block ×10, first 2 shown]
	.quad	0
	.quad	0
	.section	.debug_str,"MS",@progbits,1
.Linfo_string0:
	.asciz	"triton"                        ; string offset=0
.Linfo_string1:
	.asciz	"matmul.py"                     ; string offset=7
.Linfo_string2:
	.asciz	"/root/src/amdgpu-assembly/repos/triton-lang__triton-aot" ; string offset=17
.Linfo_string3:
	.asciz	"matmul_kernel"                 ; string offset=73
	.section	".note.GNU-stack","",@progbits
	.amdgpu_metadata
---
amdhsa.kernels:
  - .args:
      - .address_space:  global
        .offset:         0
        .size:           8
        .value_kind:     global_buffer
      - .address_space:  global
        .offset:         8
        .size:           8
        .value_kind:     global_buffer
      - .address_space:  global
        .offset:         16
        .size:           8
        .value_kind:     global_buffer
      - .offset:         24
        .size:           4
        .value_kind:     by_value
      - .offset:         28
        .size:           4
        .value_kind:     by_value
      - .offset:         32
        .size:           4
        .value_kind:     by_value
      - .offset:         36
        .size:           4
        .value_kind:     by_value
      - .offset:         40
        .size:           4
        .value_kind:     by_value
      - .offset:         44
        .size:           4
        .value_kind:     by_value
      - .offset:         48
        .size:           4
        .value_kind:     by_value
      - .offset:         52
        .size:           4
        .value_kind:     by_value
      - .offset:         56
        .size:           4
        .value_kind:     by_value
      - .address_space:  global
        .offset:         64
        .size:           8
        .value_kind:     global_buffer
      - .address_space:  global
        .offset:         72
        .size:           8
        .value_kind:     global_buffer
    .group_segment_fixed_size: 0
    .kernarg_segment_align: 8
    .kernarg_segment_size: 80
    .max_flat_workgroup_size: 256
    .name:           matmul_kernel
    .private_segment_fixed_size: 500
    .sgpr_count:     42
    .sgpr_spill_count: 0
    .symbol:         matmul_kernel.kd
    .uniform_work_group_size: 1
    .uses_dynamic_stack: false
    .vgpr_count:     256
    .vgpr_spill_count: 132
    .wavefront_size: 32
    .workgroup_processor_mode: 1
amdhsa.target:   amdgcn-amd-amdhsa--gfx1100
amdhsa.version:
  - 1
  - 2
...

	.end_amdgpu_metadata
	.section	.debug_line,"",@progbits
.Lline_table_start0:
